;; amdgpu-corpus repo=ROCm/aiter kind=harvested arch=n/a opt=n/a

/root/src/amdgpu-assembly/repos/ROCm__aiter/hsa/gfx942/fmha_v3_bwd/bwd_hd128_fp16_a32.co:	file format elf64-amdgpu

Disassembly of section .text:

0000000000003e00 <_ZN5aiter23fmha_bwd_hd128_fp16_a32E>:
	s_and_b32 s1, s1, 0xffff                                   // 000000003E00: 8601FF01 0000FFFF
	s_load_dwordx2 s[32:33], s[0:1], 0x0                       // 000000003E08: C0060800 00000000
	s_load_dwordx2 s[36:37], s[0:1], 0x10                      // 000000003E10: C0060900 00000010
	s_load_dwordx2 s[40:41], s[0:1], 0x20                      // 000000003E18: C0060A00 00000020
	s_load_dwordx2 s[8:9], s[0:1], 0x30                        // 000000003E20: C0060200 00000030
	s_load_dwordx2 s[12:13], s[0:1], 0x40                      // 000000003E28: C0060300 00000040
	s_load_dwordx2 s[16:17], s[0:1], 0x50                      // 000000003E30: C0060400 00000050
	s_load_dwordx2 s[20:21], s[0:1], 0x60                      // 000000003E38: C0060500 00000060
	s_load_dwordx2 s[24:25], s[0:1], 0x70                      // 000000003E40: C0060600 00000070
	s_load_dwordx2 s[28:29], s[0:1], 0x80                      // 000000003E48: C0060700 00000080
	s_load_dword s48, s[0:1], 0x90                             // 000000003E50: C0020C00 00000090
	s_load_dword s49, s[0:1], 0xa0                             // 000000003E58: C0020C40 000000A0
	s_load_dword s50, s[0:1], 0xb0                             // 000000003E60: C0020C80 000000B0
	s_load_dword s51, s[0:1], 0xc0                             // 000000003E68: C0020CC0 000000C0
	s_load_dword s52, s[0:1], 0xd0                             // 000000003E70: C0020D00 000000D0
	s_load_dword s53, s[0:1], 0xe0                             // 000000003E78: C0020D40 000000E0
	s_load_dword s70, s[0:1], 0xf0                             // 000000003E80: C0021180 000000F0
	s_load_dword s44, s[0:1], 0x100                            // 000000003E88: C0020B00 00000100
	s_load_dword s5, s[0:1], 0x110                             // 000000003E90: C0020140 00000110
	s_load_dword s6, s[0:1], 0x120                             // 000000003E98: C0020180 00000120
	s_load_dword s7, s[0:1], 0x130                             // 000000003EA0: C00201C0 00000130
	s_load_dword s46, s[0:1], 0x140                            // 000000003EA8: C0020B80 00000140
	v_lshrrev_b32_e32 v1, 10, v0                               // 000000003EB0: 2002008A
	v_lshrrev_b32_e32 v2, 10, v1                               // 000000003EB4: 2004028A
	v_and_b32_e32 v2, 0x3ff, v2                                // 000000003EB8: 260404FF 000003FF
	v_and_b32_e32 v1, 0x3ff, v1                                // 000000003EC0: 260202FF 000003FF
	v_and_b32_e32 v0, 0x3ff, v0                                // 000000003EC8: 260000FF 000003FF
	v_lshrrev_b32_e32 v3, 6, v0                                // 000000003ED0: 20060086
	v_and_b32_e32 v0, 63, v0                                   // 000000003ED4: 260000BF
	s_mov_b32 s2, s2                                           // 000000003ED8: BE820002
	s_mov_b32 s3, s3                                           // 000000003EDC: BE830003
	s_mov_b32 s4, s4                                           // 000000003EE0: BE840004
	v_readfirstlane_b32 s47, v3                                // 000000003EE4: 7E5E0503
	s_waitcnt lgkmcnt(0)                                       // 000000003EE8: BF8CC07F
	s_mov_b32 s10, 0x80000000                                  // 000000003EEC: BE8A00FF 80000000
	s_mov_b32 s14, 0x80000000                                  // 000000003EF4: BE8E00FF 80000000
	s_mov_b32 s18, 0x80000000                                  // 000000003EFC: BE9200FF 80000000
	s_mov_b32 s22, 0x80000000                                  // 000000003F04: BE9600FF 80000000
	s_mov_b32 s26, 0x80000000                                  // 000000003F0C: BE9A00FF 80000000
	s_mov_b32 s30, 0x80000000                                  // 000000003F14: BE9E00FF 80000000
	s_mov_b32 s34, 0x80000000                                  // 000000003F1C: BEA200FF 80000000
	s_mov_b32 s38, 0x80000000                                  // 000000003F24: BEA600FF 80000000
	s_mov_b32 s42, 0x80000000                                  // 000000003F2C: BEAA00FF 80000000
	s_mov_b32 s11, 0x20000                                     // 000000003F34: BE8B00FF 00020000
	s_mov_b32 s15, 0x20000                                     // 000000003F3C: BE8F00FF 00020000
	s_mov_b32 s19, 0x20000                                     // 000000003F44: BE9300FF 00020000
	s_mov_b32 s23, 0x20000                                     // 000000003F4C: BE9700FF 00020000
	s_mov_b32 s27, 0x20000                                     // 000000003F54: BE9B00FF 00020000
	s_mov_b32 s31, 0x20000                                     // 000000003F5C: BE9F00FF 00020000
	s_mov_b32 s35, 0x20000                                     // 000000003F64: BEA300FF 00020000
	s_mov_b32 s39, 0x20000                                     // 000000003F6C: BEA700FF 00020000
	s_mov_b32 s43, 0x20000                                     // 000000003F74: BEAB00FF 00020000
	s_and_b32 s9, s9, 0xffff                                   // 000000003F7C: 8609FF09 0000FFFF
	s_and_b32 s13, s13, 0xffff                                 // 000000003F84: 860DFF0D 0000FFFF
	s_and_b32 s17, s17, 0xffff                                 // 000000003F8C: 8611FF11 0000FFFF
	s_and_b32 s21, s21, 0xffff                                 // 000000003F94: 8615FF15 0000FFFF
	s_and_b32 s25, s25, 0xffff                                 // 000000003F9C: 8619FF19 0000FFFF
	s_and_b32 s29, s29, 0xffff                                 // 000000003FA4: 861DFF1D 0000FFFF
	s_and_b32 s33, s33, 0xffff                                 // 000000003FAC: 8621FF21 0000FFFF
	s_and_b32 s37, s37, 0xffff                                 // 000000003FB4: 8625FF25 0000FFFF
	s_and_b32 s41, s41, 0xffff                                 // 000000003FBC: 8629FF29 0000FFFF
	s_or_b32 s9, s9, 0x40000                                   // 000000003FC4: 8709FF09 00040000
	s_or_b32 s13, s13, 0x40000                                 // 000000003FCC: 870DFF0D 00040000
	s_or_b32 s17, s17, 0x40000                                 // 000000003FD4: 8711FF11 00040000
	s_or_b32 s21, s21, 0x40000                                 // 000000003FDC: 8715FF15 00040000
	s_or_b32 s25, s25, 0x40000                                 // 000000003FE4: 8719FF19 00040000
	s_or_b32 s29, s29, 0x40000                                 // 000000003FEC: 871DFF1D 00040000
	s_or_b32 s33, s33, 0x40000                                 // 000000003FF4: 8721FF21 00040000
	s_or_b32 s37, s37, 0x40000                                 // 000000003FFC: 8725FF25 00040000
	s_or_b32 s41, s41, 0x40000                                 // 000000004004: 8729FF29 00040000
	v_accvgpr_write_b32 a255, 0                                // 00000000400C: D3D940FF 18000080
	v_mov_b32_e32 v247, 0                                      // 000000004014: 7FEE0280
	s_mov_b32 s76, s8                                          // 000000004018: BECC0008
	s_mov_b32 s78, s12                                         // 00000000401C: BECE000C
	s_mov_b32 s80, s16                                         // 000000004020: BED00010
	s_mov_b32 s82, s20                                         // 000000004024: BED20014
	s_mov_b32 s77, s9                                          // 000000004028: BECD0009
	s_mov_b32 s79, s13                                         // 00000000402C: BECF000D
	s_mov_b32 s81, s17                                         // 000000004030: BED10011
	s_mov_b32 s83, s21                                         // 000000004034: BED30015
	s_mov_b32 s71, s3                                          // 000000004038: BEC70003
	v_cvt_f32_u32_e32 v28, s44                                 // 00000000403C: 7E380C2C
	s_sub_i32 s60, 0, s44                                      // 000000004040: 81BC2C80
	v_rcp_iflag_f32_e32 v28, v28                               // 000000004044: 7E38471C
	s_nop 0                                                    // 000000004048: BF800000
	v_mul_f32_e32 v28, 0x4f7ffffe, v28                         // 00000000404C: 0A3838FF 4F7FFFFE
	v_cvt_u32_f32_e32 v28, v28                                 // 000000004054: 7E380F1C
	v_mul_lo_u32 v29, s60, v28                                 // 000000004058: D285001D 0002383C
	v_mul_hi_u32 v29, v28, v29                                 // 000000004060: D286001D 00023B1C
	v_add_u32_e32 v28, v28, v29                                // 000000004068: 68383B1C
	v_mul_hi_u32 v28, s71, v28                                 // 00000000406C: D286001C 00023847
	v_mul_lo_u32 v29, v28, s44                                 // 000000004074: D285001D 0000591C
	v_sub_u32_e32 v31, s71, v29                                // 00000000407C: 6A3E3A47
	v_add_u32_e32 v30, 1, v28                                  // 000000004080: 683C3881
	v_cmp_le_u32_e32 vcc, s44, v31                             // 000000004084: 7D963E2C
	v_subrev_u32_e32 v29, s44, v31                             // 000000004088: 6C3A3E2C
	s_nop 0                                                    // 00000000408C: BF800000
	v_cndmask_b32_e32 v28, v28, v30, vcc                       // 000000004090: 00383D1C
	v_cndmask_b32_e32 v31, v31, v29, vcc                       // 000000004094: 003E3B1F
	v_add_u32_e32 v29, 1, v28                                  // 000000004098: 683A3881
	v_cmp_le_u32_e32 vcc, s44, v31                             // 00000000409C: 7D963E2C
	s_nop 1                                                    // 0000000040A0: BF800001
	v_cndmask_b32_e32 v31, v28, v29, vcc                       // 0000000040A4: 003E3B1C
	s_nop 3                                                    // 0000000040A8: BF800003
	v_readfirstlane_b32 s45, v31                               // 0000000040AC: 7E5A051F
	s_nop 3                                                    // 0000000040B0: BF800003
	v_mov_b32_e32 v28, s48                                     // 0000000040B4: 7E380230
	v_mul_f32_e32 v28, s49, v28                                // 0000000040B8: 0A383831
	s_mov_b32 s66, 0                                           // 0000000040BC: BEC20080
	s_mov_b32 s58, s50                                         // 0000000040C0: BEBA0032
	s_mov_b32 s59, 0                                           // 0000000040C4: BEBB0080
	s_mov_b32 s63, 0x5040100                                   // 0000000040C8: BEBF00FF 05040100
	s_mov_b32 s64, 0x7060302                                   // 0000000040D0: BEC000FF 07060302
	v_readfirstlane_b32 s57, v28                               // 0000000040D8: 7E72051C
	v_mov_b32_e32 v30, 0x3020706                               // 0000000040DC: 7E3C02FF 03020706
	v_mov_b32_e32 v28, s63                                     // 0000000040E4: 7E38023F
	v_and_b32_e32 v29, 1, v0                                   // 0000000040E8: 263A0081
	v_cmp_eq_u32_e32 vcc, 1, v29                               // 0000000040EC: 7D943A81
	s_mov_b32 s67, 0x2000                                      // 0000000040F0: BEC300FF 00002000
	v_cndmask_b32_e32 v15, v28, v30, vcc                       // 0000000040F8: 001E3D1C
	s_cmp_lt_u32 s47, 2                                        // 0000000040FC: BF0A822F
	s_cselect_b32 s24, s24, s28                                // 000000004100: 85181C18
	s_cselect_b32 s25, s25, s29                                // 000000004104: 85191D19
	s_cselect_b32 s26, s26, s30                                // 000000004108: 851A1E1A
	s_cselect_b32 s27, s27, s31                                // 00000000410C: 851B1F1B
	s_lshr_b32 s60, s47, 1                                     // 000000004110: 8F3C812F
	s_lshl_b32 s60, s60, 8                                     // 000000004114: 8E3C883C
	s_add_u32 s74, 0xc600, s60                                 // 000000004118: 804A3CFF 0000C600
	s_add_u32 s75, 0x200, s74                                  // 000000004120: 804B4AFF 00000200
	s_mov_b32 m0, s74                                          // 000000004128: BEFC004A
	v_mov_b32_e32 v151, 0xff800000                             // 00000000412C: 7F2E02FF FF800000
	s_mul_i32 s68, 16, s70                                     // 000000004134: 92444690
	s_mov_b32 s69, 16                                          // 000000004138: BEC50090
	s_mul_i32 s60, s2, s51                                     // 00000000413C: 923C3302
	s_mul_i32 s61, s45, s5                                     // 000000004140: 923D052D
	s_add_u32 s54, s60, s61                                    // 000000004144: 80363D3C
	s_mul_i32 s61, s3, s52                                     // 000000004148: 923D3403
	s_mov_b32 s55, s61                                         // 00000000414C: BEB7003D
	s_mov_b32 s56, s55                                         // 000000004150: BEB80037
	s_mul_i32 s62, s4, s53                                     // 000000004154: 923E3504
	s_cmp_lt_u32 s53, s70                                      // 000000004158: BF0A4635
	s_cbranch_scc0 label_00DC                                  // 00000000415C: BF840004
	s_lshr_b32 s62, s62, 8                                     // 000000004160: 8F3E883E
	s_mul_i32 s62, s62, s50                                    // 000000004164: 923E323E
	s_lshl_b32 s62, s62, 2                                     // 000000004168: 8E3E823E
	s_branch label_00E0                                        // 00000000416C: BF820004

0000000000004170 <label_00DC>:
	s_mul_hi_u32 s60, s4, s53                                  // 000000004170: 963C3504
	s_lshr_b32 s62, s62, 6                                     // 000000004174: 8F3E863E
	s_lshl_b32 s60, s60, 26                                    // 000000004178: 8E3C9A3C
	s_or_b32 s62, s62, s60                                     // 00000000417C: 873E3C3E

0000000000004180 <label_00E0>:
	s_mul_i32 s61, s3, s50                                     // 000000004180: 923D3203
	s_mul_i32 s61, 4, s61                                      // 000000004184: 923D3D84
	s_add_u32 s65, s61, s62                                    // 000000004188: 80413E3D
	s_mov_b32 s71, s7                                          // 00000000418C: BEC70007
	v_lshrrev_b32_e32 v28, 4, v0                               // 000000004190: 20380084
	v_and_b32_e32 v29, 1, v28                                  // 000000004194: 263A3881
	v_lshlrev_b32_e32 v29, 1, v29                              // 000000004198: 243A3A81
	v_mul_i32_i24_e32 v29, s71, v29                            // 00000000419C: 0C3A3A47
	v_and_b32_e32 v30, 2, v28                                  // 0000000041A0: 263C3882
	v_lshlrev_b32_e32 v30, 5, v30                              // 0000000041A4: 243C3C85
	v_add_u32_e32 v29, v30, v29                                // 0000000041A8: 683A3B1E
	v_and_b32_e32 v28, 15, v0                                  // 0000000041AC: 2638008F
	v_lshlrev_b32_e32 v28, 2, v28                              // 0000000041B0: 24383882
	v_add_u32_e32 v1, v28, v29                                 // 0000000041B4: 68023B1C
	s_and_b32 s60, 1, s47                                      // 0000000041B8: 863C2F81
	s_mul_i32 s60, s60, s71                                    // 0000000041BC: 923C473C
	s_mul_i32 s60, s60, 8                                      // 0000000041C0: 923C883C
	s_lshr_b32 s61, s47, 1                                     // 0000000041C4: 8F3D812F
	s_mul_i32 s61, s61, 0x80                                   // 0000000041C8: 923DFF3D 00000080
	s_add_u32 s60, s60, s61                                    // 0000000041D0: 803C3D3C
	v_add_u32_e32 v1, s60, v1                                  // 0000000041D4: 6802023C
	v_add_u32_e32 v2, s71, v1                                  // 0000000041D8: 68040247
	s_mul_i32 s60, 4, s71                                      // 0000000041DC: 923C4784
	v_add_u32_e32 v3, s60, v1                                  // 0000000041E0: 6806023C
	v_add_u32_e32 v4, s60, v2                                  // 0000000041E4: 6808043C
	v_lshrrev_b32_e32 v1, 2, v1                                // 0000000041E8: 20020282
	v_lshrrev_b32_e32 v2, 2, v2                                // 0000000041EC: 20040482
	v_lshrrev_b32_e32 v3, 2, v3                                // 0000000041F0: 20060682
	v_lshrrev_b32_e32 v4, 2, v4                                // 0000000041F4: 20080882
	s_add_u32 s12, s54, s78                                    // 0000000041F8: 800C4E36
	s_addc_u32 s13, 0, s79                                     // 0000000041FC: 820D4F80
	s_mul_i32 s60, s4, s6                                      // 000000004200: 923C0604
	s_mul_hi_u32 s61, s4, s6                                   // 000000004204: 963D0604
	s_and_b32 s61, s61, 0xffff                                 // 000000004208: 863DFF3D 0000FFFF
	s_add_u32 s12, s12, s60                                    // 000000004210: 800C3C0C
	s_addc_u32 s13, s13, s61                                   // 000000004214: 820D3D0D
	s_add_u32 s16, s54, s80                                    // 000000004218: 80105036
	s_addc_u32 s17, 0, s81                                     // 00000000421C: 82115180
	s_mul_i32 s60, s4, s6                                      // 000000004220: 923C0604
	s_mul_hi_u32 s61, s4, s6                                   // 000000004224: 963D0604
	s_and_b32 s61, s61, 0xffff                                 // 000000004228: 863DFF3D 0000FFFF
	s_add_u32 s16, s16, s60                                    // 000000004230: 80103C10
	s_addc_u32 s17, s17, s61                                   // 000000004234: 82113D11
	s_add_u32 s8, s55, s76                                     // 000000004238: 80084C37
	s_addc_u32 s9, 0, s77                                      // 00000000423C: 82094D80
	s_mul_i32 s60, s4, s53                                     // 000000004240: 923C3504
	s_mul_hi_u32 s61, s4, s53                                  // 000000004244: 963D3504
	s_and_b32 s61, s61, 0xffff                                 // 000000004248: 863DFF3D 0000FFFF
	s_add_u32 s8, s8, s60                                      // 000000004250: 80083C08
	s_addc_u32 s9, s9, s61                                     // 000000004254: 82093D09
	s_add_u32 s20, s56, s82                                    // 000000004258: 80145238
	s_addc_u32 s21, 0, s83                                     // 00000000425C: 82155380
	s_mul_i32 s60, s4, s53                                     // 000000004260: 923C3504
	s_mul_hi_u32 s61, s4, s53                                  // 000000004264: 963D3504
	s_and_b32 s61, s61, 0xffff                                 // 000000004268: 863DFF3D 0000FFFF
	s_add_u32 s20, s20, s60                                    // 000000004270: 80143C14
	s_addc_u32 s21, s21, s61                                   // 000000004274: 82153D15
	v_and_b32_e32 v9, 15, v0                                   // 000000004278: 2612008F
	v_lshlrev_b32_e32 v9, 2, v9                                // 00000000427C: 24121282
	v_add_u32_e32 v9, s65, v9                                  // 000000004280: 68121241
	v_lshrrev_b32_e32 v9, 2, v9                                // 000000004284: 20121282
	v_lshrrev_b32_e32 v28, 4, v0                               // 000000004288: 20380084
	v_mul_i32_i24_e32 v5, s46, v28                             // 00000000428C: 0C0A382E
	v_lshrrev_b32_e32 v5, 2, v5                                // 000000004290: 200A0A82
	v_and_b32_e32 v28, 15, v0                                  // 000000004294: 2638008F
	v_lshlrev_b32_e32 v29, 2, v28                              // 000000004298: 243A3882
	v_add_u32_e32 v5, v29, v5                                  // 00000000429C: 680A0B1D
	s_mul_i32 s60, 16, s46                                     // 0000000042A0: 923C2E90
	s_mul_i32 s60, s47, s60                                    // 0000000042A4: 923C3C2F
	v_lshlrev_b32_e32 v5, 2, v5                                // 0000000042A8: 240A0A82
	v_add_u32_e32 v5, s60, v5                                  // 0000000042AC: 680A0A3C
	s_mul_i32 s60, 0xc0, s46                                   // 0000000042B0: 923C2EFF 000000C0
	s_mul_i32 s60, s2, s60                                     // 0000000042B8: 923C3C02
	s_mul_i32 s61, s3, s5                                      // 0000000042BC: 923D0503
	s_add_u32 s60, s60, s61                                    // 0000000042C0: 803C3D3C
	v_add_u32_e32 v5, s60, v5                                  // 0000000042C4: 680A0A3C
	v_lshrrev_b32_e32 v5, 2, v5                                // 0000000042C8: 200A0A82
	v_mov_b32_e32 v6, v5                                       // 0000000042CC: 7E0C0305
	s_mul_i32 s62, s6, s44                                     // 0000000042D0: 923E2C06
	s_mul_i32 s60, s4, s62                                     // 0000000042D4: 923C3E04
	s_mul_hi_u32 s61, s4, s62                                  // 0000000042D8: 963D3E04
	s_and_b32 s61, s61, 0xffff                                 // 0000000042DC: 863DFF3D 0000FFFF
	s_add_u32 s36, s36, s60                                    // 0000000042E4: 80243C24
	s_addc_u32 s37, s37, s61                                   // 0000000042E8: 82253D25
	s_add_u32 s40, s40, s60                                    // 0000000042EC: 80283C28
	s_addc_u32 s41, s41, s61                                   // 0000000042F0: 82293D29
	v_lshrrev_b32_e32 v28, 5, v0                               // 0000000042F4: 20380085
	v_mul_i32_i24_e32 v7, 0x100, v28                           // 0000000042F8: 0C0E38FF 00000100
	v_and_b32_e32 v28, 31, v0                                  // 000000004300: 2638009F
	v_add_u32_e32 v7, v28, v7                                  // 000000004304: 680E0F1C
	s_mul_i32 s60, s47, 0x200                                  // 000000004308: 923CFF2F 00000200
	v_add_u32_e32 v7, s60, v7                                  // 000000004310: 680E0E3C
	v_lshlrev_b32_e32 v7, 2, v7                                // 000000004314: 240E0E82
	v_add_u32_e32 v8, 0x200, v7                                // 000000004318: 68100EFF 00000200
	s_mul_i32 s60, s4, s53                                     // 000000004320: 923C3504
	s_mul_hi_u32 s61, s4, s53                                  // 000000004324: 963D3504
	s_lshr_b32 s60, s60, 6                                     // 000000004328: 8F3C863C
	s_lshl_b32 s61, s61, 26                                    // 00000000432C: 8E3D9A3D
	s_or_b32 s60, s60, s61                                     // 000000004330: 873C3D3C
	s_sub_i32 s62, s65, s60                                    // 000000004334: 81BE3C41
	s_mul_i32 s72, 0x80, s62                                   // 000000004338: 92483EFF 00000080
	s_mul_i32 s61, 0x80, s60                                   // 000000004340: 923D3CFF 00000080
	s_mul_hi_u32 s62, 0x80, s60                                // 000000004348: 963E3CFF 00000080
	s_and_b32 s62, s62, 0xffff                                 // 000000004350: 863EFF3E 0000FFFF
	s_add_u32 s32, s32, s61                                    // 000000004358: 80203D20
	s_addc_u32 s33, s33, s62                                   // 00000000435C: 82213E21
	v_add_u32_e32 v7, s72, v7                                  // 000000004360: 680E0E48
	v_lshrrev_b32_e32 v7, 2, v7                                // 000000004364: 200E0E82
	v_add_u32_e32 v8, s72, v8                                  // 000000004368: 68101048
	v_lshrrev_b32_e32 v8, 2, v8                                // 00000000436C: 20101082
	s_mul_i32 s60, 3, s2                                       // 000000004370: 923C0283
	s_lshr_b32 s61, s50, 6                                     // 000000004374: 8F3D8632
	s_sub_i32 s73, s61, s60                                    // 000000004378: 81C93C3D
	s_cmp_lt_i32 s73, 3                                        // 00000000437C: BF048349
	s_cselect_b32 s73, s73, 3                                  // 000000004380: 85498349
	v_and_b32_e32 v28, 31, v0                                  // 000000004384: 2638009F
	v_lshrrev_b32_e32 v28, 1, v28                              // 000000004388: 20383881
	v_and_b32_e32 v29, 1, v28                                  // 00000000438C: 263A3881
	v_lshlrev_b32_e32 v29, 4, v29                              // 000000004390: 243A3A84
	v_and_b32_e32 v30, 2, v28                                  // 000000004394: 263C3882
	v_lshlrev_b32_e32 v30, 2, v30                              // 000000004398: 243C3C82
	v_add_u32_e32 v29, v30, v29                                // 00000000439C: 683A3B1E
	v_and_b32_e32 v30, 12, v28                                 // 0000000043A0: 263C388C
	v_lshrrev_b32_e32 v30, 1, v30                              // 0000000043A4: 203C3C81
	v_add_u32_e32 v29, v30, v29                                // 0000000043A8: 683A3B1E
	v_lshrrev_b32_e32 v28, 5, v0                               // 0000000043AC: 20380085
	v_mul_i32_i24_e32 v30, 0x80, v28                           // 0000000043B0: 0C3C38FF 00000080
	v_add_u32_e32 v29, v30, v29                                // 0000000043B8: 683A3B1E
	v_and_b32_e32 v30, 1, v0                                   // 0000000043BC: 263C0081
	v_add_u32_e32 v11, v30, v29                                // 0000000043C0: 68163B1E
	s_and_b32 s60, 1, s47                                      // 0000000043C4: 863C2F81
	s_mul_i32 s60, s60, 64                                     // 0000000043C8: 923CC03C
	s_lshr_b32 s61, s47, 1                                     // 0000000043CC: 8F3D812F
	s_mul_i32 s61, s61, 0x220                                  // 0000000043D0: 923DFF3D 00000220
	s_add_u32 s60, s60, s61                                    // 0000000043D8: 803C3D3C
	v_add_u32_e32 v11, s60, v11                                // 0000000043DC: 6816163C
	v_lshlrev_b32_e32 v11, 2, v11                              // 0000000043E0: 24161682
	v_lshrrev_b32_e32 v28, 4, v0                               // 0000000043E4: 20380084
	v_and_b32_e32 v29, 1, v28                                  // 0000000043E8: 263A3881
	v_lshlrev_b32_e32 v29, 4, v29                              // 0000000043EC: 243A3A84
	v_and_b32_e32 v30, 2, v28                                  // 0000000043F0: 263C3882
	v_mul_i32_i24_e32 v30, 4, v30                              // 0000000043F4: 0C3C3C84
	v_add_u32_e32 v29, v30, v29                                // 0000000043F8: 683A3B1E
	v_and_b32_e32 v28, 15, v0                                  // 0000000043FC: 2638008F
	v_lshrrev_b32_e32 v30, 2, v28                              // 000000004400: 203C3882
	v_lshlrev_b32_e32 v30, 5, v30                              // 000000004404: 243C3C85
	v_add_u32_e32 v29, v30, v29                                // 000000004408: 683A3B1E
	v_and_b32_e32 v28, 3, v0                                   // 00000000440C: 26380083
	v_and_b32_e32 v30, 1, v28                                  // 000000004410: 263C3881
	v_mul_i32_i24_e32 v30, 0x108, v30                          // 000000004414: 0C3C3CFF 00000108
	v_add_u32_e32 v29, v30, v29                                // 00000000441C: 683A3B1E
	v_and_b32_e32 v30, 2, v28                                  // 000000004420: 263C3882
	v_lshlrev_b32_e32 v30, 1, v30                              // 000000004424: 243C3C81
	v_add_u32_e32 v10, v30, v29                                // 000000004428: 68143B1E
	v_lshlrev_b32_e32 v10, 2, v10                              // 00000000442C: 24141482
	s_mul_i32 s60, s47, 0x1100                                 // 000000004430: 923CFF2F 00001100
	v_add_u32_e32 v22, s60, v10                                // 000000004438: 682C143C
	v_lshrrev_b32_e32 v28, 5, v0                               // 00000000443C: 20380085
	v_mul_i32_i24_e32 v13, 0x80, v28                           // 000000004440: 0C1A38FF 00000080
	v_and_b32_e32 v28, 31, v0                                  // 000000004448: 2638009F
	v_and_b32_e32 v29, 7, v28                                  // 00000000444C: 263A3887
	v_and_b32_e32 v30, 1, v29                                  // 000000004450: 263C3A81
	v_lshlrev_b32_e32 v30, 2, v30                              // 000000004454: 243C3C82
	v_add_u32_e32 v13, v30, v13                                // 000000004458: 681A1B1E
	v_and_b32_e32 v30, 2, v29                                  // 00000000445C: 263C3A82
	v_lshlrev_b32_e32 v30, 3, v30                              // 000000004460: 243C3C83
	v_add_u32_e32 v13, v30, v13                                // 000000004464: 681A1B1E
	v_and_b32_e32 v30, 4, v29                                  // 000000004468: 263C3A84
	v_lshlrev_b32_e32 v30, 1, v30                              // 00000000446C: 243C3C81
	v_add_u32_e32 v13, v30, v13                                // 000000004470: 681A1B1E
	v_lshrrev_b32_e32 v29, 3, v28                              // 000000004474: 203A3883
	v_and_b32_e32 v30, 1, v29                                  // 000000004478: 263C3A81
	v_lshlrev_b32_e32 v30, 1, v30                              // 00000000447C: 243C3C81
	v_add_u32_e32 v13, v30, v13                                // 000000004480: 681A1B1E
	v_and_b32_e32 v30, 2, v29                                  // 000000004484: 263C3A82
	v_lshrrev_b32_e32 v30, 1, v30                              // 000000004488: 203C3C81
	v_add_u32_e32 v13, v30, v13                                // 00000000448C: 681A1B1E
	s_and_b32 s60, 1, s47                                      // 000000004490: 863C2F81
	s_mul_i32 s60, s60, 64                                     // 000000004494: 923CC03C
	s_lshr_b32 s61, s47, 1                                     // 000000004498: 8F3D812F
	s_mul_i32 s61, s61, 0x220                                  // 00000000449C: 923DFF3D 00000220
	s_add_u32 s60, s60, s61                                    // 0000000044A4: 803C3D3C
	v_add_u32_e32 v13, s60, v13                                // 0000000044A8: 681A1A3C
	v_lshlrev_b32_e32 v13, 2, v13                              // 0000000044AC: 241A1A82
	v_and_b32_e32 v28, 15, v0                                  // 0000000044B0: 2638008F
	v_and_b32_e32 v30, 1, v28                                  // 0000000044B4: 263C3881
	v_mul_i32_i24_e32 v12, 0x108, v30                          // 0000000044B8: 0C183CFF 00000108
	v_and_b32_e32 v30, 2, v28                                  // 0000000044C0: 263C3882
	v_lshlrev_b32_e32 v30, 1, v30                              // 0000000044C4: 243C3C81
	v_add_u32_e32 v12, v30, v12                                // 0000000044C8: 6818191E
	v_and_b32_e32 v30, 4, v28                                  // 0000000044CC: 263C3884
	v_lshlrev_b32_e32 v30, 2, v30                              // 0000000044D0: 243C3C82
	v_add_u32_e32 v12, v30, v12                                // 0000000044D4: 6818191E
	v_and_b32_e32 v30, 8, v28                                  // 0000000044D8: 263C3888
	v_add_u32_e32 v12, v30, v12                                // 0000000044DC: 6818191E
	v_lshrrev_b32_e32 v28, 4, v0                               // 0000000044E0: 20380084
	v_and_b32_e32 v30, 1, v28                                  // 0000000044E4: 263C3881
	v_lshlrev_b32_e32 v30, 5, v30                              // 0000000044E8: 243C3C85
	v_add_u32_e32 v12, v30, v12                                // 0000000044EC: 6818191E
	v_and_b32_e32 v29, 2, v28                                  // 0000000044F0: 263A3882
	v_mul_i32_i24_e32 v30, 32, v29                             // 0000000044F4: 0C3C3AA0
	v_mul_i32_i24_e32 v29, 0x220, v29                          // 0000000044F8: 0C3A3AFF 00000220
	v_add_u32_e32 v23, v29, v12                                // 000000004500: 682E191D
	v_add_u32_e32 v12, v30, v12                                // 000000004504: 6818191E
	v_lshlrev_b32_e32 v12, 2, v12                              // 000000004508: 24181882
	v_lshlrev_b32_e32 v23, 2, v23                              // 00000000450C: 242E2E82
	s_and_b32 s60, 1, s47                                      // 000000004510: 863C2F81
	s_mul_i32 s60, s60, 0x200                                  // 000000004514: 923CFF3C 00000200
	s_lshr_b32 s61, s47, 1                                     // 00000000451C: 8F3D812F
	s_mul_i32 s61, s61, 0x880                                  // 000000004520: 923DFF3D 00000880
	s_add_u32 s60, s60, s61                                    // 000000004528: 803C3D3C
	v_add_u32_e32 v23, s60, v23                                // 00000000452C: 682E2E3C
	v_lshrrev_b32_e32 v28, 4, v0                               // 000000004530: 20380084
	v_mul_i32_i24_e32 v21, 4, v28                              // 000000004534: 0C2A3884
	v_and_b32_e32 v29, 3, v0                                   // 000000004538: 263A0083
	v_add_u32_e32 v21, v29, v21                                // 00000000453C: 682A2B1D
	v_lshlrev_b32_e32 v21, 2, v21                              // 000000004540: 242A2A82
	v_lshrrev_b32_e32 v28, 4, v0                               // 000000004544: 20380084
	v_and_b32_e32 v29, 1, v28                                  // 000000004548: 263A3881
	v_mul_i32_i24_e32 v19, 0x100, v29                          // 00000000454C: 0C263AFF 00000100
	v_and_b32_e32 v29, 2, v28                                  // 000000004554: 263A3882
	v_mul_i32_i24_e32 v29, 64, v29                             // 000000004558: 0C3A3AC0
	v_add_u32_e32 v19, v29, v19                                // 00000000455C: 6826271D
	v_and_b32_e32 v28, 15, v0                                  // 000000004560: 2638008F
	v_mul_i32_i24_e32 v29, 2, v28                              // 000000004564: 0C3A3882
	v_add_u32_e32 v19, v29, v19                                // 000000004568: 6826271D
	s_mul_i32 s60, s47, 32                                     // 00000000456C: 923CA02F
	v_add_u32_e32 v19, s60, v19                                // 000000004570: 6826263C
	v_lshlrev_b32_e32 v19, 2, v19                              // 000000004574: 24262682
	v_lshlrev_b32_e32 v20, 1, v0                               // 000000004578: 24280081
	s_mul_i32 s60, s47, 0x200                                  // 00000000457C: 923CFF2F 00000200
	v_add_u32_e32 v20, s60, v20                                // 000000004584: 6828283C
	v_lshlrev_b32_e32 v20, 2, v20                              // 000000004588: 24282882
	v_lshrrev_b32_e32 v28, 5, v0                               // 00000000458C: 20380085
	v_mul_i32_i24_e32 v17, 64, v28                             // 000000004590: 0C2238C0
	v_and_b32_e32 v28, 31, v0                                  // 000000004594: 2638009F
	v_and_b32_e32 v28, 3, v28                                  // 000000004598: 26383883
	v_and_b32_e32 v29, 1, v28                                  // 00000000459C: 263A3881
	v_mul_i32_i24_e32 v29, 4, v29                              // 0000000045A0: 0C3A3A84
	v_add_u32_e32 v17, v29, v17                                // 0000000045A4: 6822231D
	v_and_b32_e32 v29, 2, v28                                  // 0000000045A8: 263A3882
	v_mul_i32_i24_e32 v29, 0x44, v29                           // 0000000045AC: 0C3A3AFF 00000044
	v_add_u32_e32 v17, v29, v17                                // 0000000045B4: 6822231D
	v_and_b32_e32 v28, 31, v0                                  // 0000000045B8: 2638009F
	v_lshrrev_b32_e32 v28, 2, v28                              // 0000000045BC: 20383882
	v_lshrrev_b32_e32 v30, 2, v28                              // 0000000045C0: 203C3882
	v_mul_i32_i24_e32 v29, 16, v30                             // 0000000045C4: 0C3A3C90
	v_add_u32_e32 v17, v29, v17                                // 0000000045C8: 6822231D
	v_and_b32_e32 v29, 2, v28                                  // 0000000045CC: 263A3882
	v_lshlrev_b32_e32 v29, 4, v29                              // 0000000045D0: 243A3A84
	v_add_u32_e32 v17, v29, v17                                // 0000000045D4: 6822231D
	v_and_b32_e32 v29, 1, v28                                  // 0000000045D8: 263A3881
	v_xor_b32_e32 v29, v30, v29                                // 0000000045DC: 2A3A3B1E
	v_mul_i32_i24_e32 v29, 8, v29                              // 0000000045E0: 0C3A3A88
	v_add_u32_e32 v17, v29, v17                                // 0000000045E4: 6822231D
	v_lshlrev_b32_e32 v17, 2, v17                              // 0000000045E8: 24222282
	v_lshrrev_b32_e32 v28, 5, v0                               // 0000000045EC: 20380085
	v_mul_i32_i24_e32 v18, 32, v28                             // 0000000045F0: 0C2438A0
	v_and_b32_e32 v28, 31, v0                                  // 0000000045F4: 2638009F
	v_and_b32_e32 v28, 3, v28                                  // 0000000045F8: 26383883
	v_and_b32_e32 v29, 1, v28                                  // 0000000045FC: 263A3881
	v_mul_i32_i24_e32 v29, 4, v29                              // 000000004600: 0C3A3A84
	v_add_u32_e32 v18, v29, v18                                // 000000004604: 6824251D
	v_and_b32_e32 v29, 2, v28                                  // 000000004608: 263A3882
	v_lshrrev_b32_e32 v29, 1, v29                              // 00000000460C: 203A3A81
	v_add_u32_e32 v18, v29, v18                                // 000000004610: 6824251D
	v_and_b32_e32 v28, 31, v0                                  // 000000004614: 2638009F
	v_lshrrev_b32_e32 v28, 2, v28                              // 000000004618: 20383882
	v_and_b32_e32 v30, 1, v28                                  // 00000000461C: 263C3881
	v_mul_i32_i24_e32 v29, 16, v30                             // 000000004620: 0C3A3C90
	v_add_u32_e32 v18, v29, v18                                // 000000004624: 6824251D
	v_and_b32_e32 v29, 2, v28                                  // 000000004628: 263A3882
	v_add_u32_e32 v18, v29, v18                                // 00000000462C: 6824251D
	v_lshrrev_b32_e32 v29, 2, v28                              // 000000004630: 203A3882
	v_xor_b32_e32 v29, v30, v29                                // 000000004634: 2A3A3B1E
	v_mul_i32_i24_e32 v29, 8, v29                              // 000000004638: 0C3A3A88
	v_add_u32_e32 v18, v29, v18                                // 00000000463C: 6824251D
	s_and_b32 s60, 1, s47                                      // 000000004640: 863C2F81
	s_mul_i32 s60, s60, 64                                     // 000000004644: 923CC03C
	s_lshr_b32 s61, s47, 1                                     // 000000004648: 8F3D812F
	s_mul_i32 s61, s61, 0x120                                  // 00000000464C: 923DFF3D 00000120
	s_add_u32 s60, s60, s61                                    // 000000004654: 803C3D3C
	v_add_u32_e32 v18, s60, v18                                // 000000004658: 6824243C
	v_lshlrev_b32_e32 v18, 2, v18                              // 00000000465C: 24242482
	buffer_load_dword v152, v1, s[12:15], 0 idxen              // 000000004660: E0502000 80039801
	buffer_load_dword v153, v2, s[12:15], 0 idxen              // 000000004668: E0502000 80039902
	buffer_load_dword v154, v3, s[12:15], 0 idxen              // 000000004670: E0502000 80039A03
	buffer_load_dword v155, v4, s[12:15], 0 idxen              // 000000004678: E0502000 80039B04
	s_mul_i32 s60, 16, s7                                      // 000000004680: 923C0790
	s_cmp_lt_i32 0, s73                                        // 000000004684: BF044980
	s_cselect_b32 s60, s60, 0                                  // 000000004688: 853C803C
	s_add_u32 s12, s60, s12                                    // 00000000468C: 800C0C3C
	s_addc_u32 s13, 0, s13                                     // 000000004690: 820D0D80
	buffer_load_dword v156, v1, s[12:15], 0 idxen              // 000000004694: E0502000 80039C01
	buffer_load_dword v157, v2, s[12:15], 0 idxen              // 00000000469C: E0502000 80039D02
	buffer_load_dword v158, v3, s[12:15], 0 idxen              // 0000000046A4: E0502000 80039E03
	buffer_load_dword v159, v4, s[12:15], 0 idxen              // 0000000046AC: E0502000 80039F04
	s_mul_i32 s60, 16, s7                                      // 0000000046B4: 923C0790
	s_cmp_lt_i32 0, s73                                        // 0000000046B8: BF044980
	s_cselect_b32 s60, s60, 0                                  // 0000000046BC: 853C803C
	s_add_u32 s12, s60, s12                                    // 0000000046C0: 800C0C3C
	s_addc_u32 s13, 0, s13                                     // 0000000046C4: 820D0D80
	buffer_load_dword v160, v1, s[12:15], 0 idxen              // 0000000046C8: E0502000 8003A001
	buffer_load_dword v161, v2, s[12:15], 0 idxen              // 0000000046D0: E0502000 8003A102
	buffer_load_dword v162, v3, s[12:15], 0 idxen              // 0000000046D8: E0502000 8003A203
	buffer_load_dword v163, v4, s[12:15], 0 idxen              // 0000000046E0: E0502000 8003A304
	s_mul_i32 s60, 16, s7                                      // 0000000046E8: 923C0790
	s_cmp_lt_i32 0, s73                                        // 0000000046EC: BF044980
	s_cselect_b32 s60, s60, 0                                  // 0000000046F0: 853C803C
	s_add_u32 s12, s60, s12                                    // 0000000046F4: 800C0C3C
	s_addc_u32 s13, 0, s13                                     // 0000000046F8: 820D0D80
	buffer_load_dword v164, v1, s[12:15], 0 idxen              // 0000000046FC: E0502000 8003A401
	buffer_load_dword v165, v2, s[12:15], 0 idxen              // 000000004704: E0502000 8003A502
	buffer_load_dword v166, v3, s[12:15], 0 idxen              // 00000000470C: E0502000 8003A603
	buffer_load_dword v167, v4, s[12:15], 0 idxen              // 000000004714: E0502000 8003A704
	s_mul_i32 s60, 16, s7                                      // 00000000471C: 923C0790
	s_cmp_lt_i32 1, s73                                        // 000000004720: BF044981
	s_cselect_b32 s60, s60, 0                                  // 000000004724: 853C803C
	s_add_u32 s12, s60, s12                                    // 000000004728: 800C0C3C
	s_addc_u32 s13, 0, s13                                     // 00000000472C: 820D0D80
	buffer_load_dword v168, v1, s[12:15], 0 idxen              // 000000004730: E0502000 8003A801
	buffer_load_dword v169, v2, s[12:15], 0 idxen              // 000000004738: E0502000 8003A902
	buffer_load_dword v170, v3, s[12:15], 0 idxen              // 000000004740: E0502000 8003AA03
	buffer_load_dword v171, v4, s[12:15], 0 idxen              // 000000004748: E0502000 8003AB04
	s_mul_i32 s60, 16, s7                                      // 000000004750: 923C0790
	s_cmp_lt_i32 1, s73                                        // 000000004754: BF044981
	s_cselect_b32 s60, s60, 0                                  // 000000004758: 853C803C
	s_add_u32 s12, s60, s12                                    // 00000000475C: 800C0C3C
	s_addc_u32 s13, 0, s13                                     // 000000004760: 820D0D80
	buffer_load_dword v172, v1, s[12:15], 0 idxen              // 000000004764: E0502000 8003AC01
	buffer_load_dword v173, v2, s[12:15], 0 idxen              // 00000000476C: E0502000 8003AD02
	buffer_load_dword v174, v3, s[12:15], 0 idxen              // 000000004774: E0502000 8003AE03
	buffer_load_dword v175, v4, s[12:15], 0 idxen              // 00000000477C: E0502000 8003AF04
	s_mul_i32 s60, 16, s7                                      // 000000004784: 923C0790
	s_cmp_lt_i32 1, s73                                        // 000000004788: BF044981
	s_cselect_b32 s60, s60, 0                                  // 00000000478C: 853C803C
	s_add_u32 s12, s60, s12                                    // 000000004790: 800C0C3C
	s_addc_u32 s13, 0, s13                                     // 000000004794: 820D0D80
	buffer_load_dword v176, v1, s[12:15], 0 idxen              // 000000004798: E0502000 8003B001
	buffer_load_dword v177, v2, s[12:15], 0 idxen              // 0000000047A0: E0502000 8003B102
	buffer_load_dword v178, v3, s[12:15], 0 idxen              // 0000000047A8: E0502000 8003B203
	buffer_load_dword v179, v4, s[12:15], 0 idxen              // 0000000047B0: E0502000 8003B304
	s_mul_i32 s60, 16, s7                                      // 0000000047B8: 923C0790
	s_cmp_lt_i32 1, s73                                        // 0000000047BC: BF044981
	s_cselect_b32 s60, s60, 0                                  // 0000000047C0: 853C803C
	s_add_u32 s12, s60, s12                                    // 0000000047C4: 800C0C3C
	s_addc_u32 s13, 0, s13                                     // 0000000047C8: 820D0D80
	buffer_load_dword v180, v1, s[12:15], 0 idxen              // 0000000047CC: E0502000 8003B401
	buffer_load_dword v181, v2, s[12:15], 0 idxen              // 0000000047D4: E0502000 8003B502
	buffer_load_dword v182, v3, s[12:15], 0 idxen              // 0000000047DC: E0502000 8003B603
	buffer_load_dword v183, v4, s[12:15], 0 idxen              // 0000000047E4: E0502000 8003B704
	s_mul_i32 s60, 16, s7                                      // 0000000047EC: 923C0790
	s_cmp_lt_i32 2, s73                                        // 0000000047F0: BF044982
	s_cselect_b32 s60, s60, 0                                  // 0000000047F4: 853C803C
	s_add_u32 s12, s60, s12                                    // 0000000047F8: 800C0C3C
	s_addc_u32 s13, 0, s13                                     // 0000000047FC: 820D0D80
	buffer_load_dword v184, v1, s[12:15], 0 idxen              // 000000004800: E0502000 8003B801
	buffer_load_dword v185, v2, s[12:15], 0 idxen              // 000000004808: E0502000 8003B902
	buffer_load_dword v186, v3, s[12:15], 0 idxen              // 000000004810: E0502000 8003BA03
	buffer_load_dword v187, v4, s[12:15], 0 idxen              // 000000004818: E0502000 8003BB04
	s_mul_i32 s60, 16, s7                                      // 000000004820: 923C0790
	s_cmp_lt_i32 2, s73                                        // 000000004824: BF044982
	s_cselect_b32 s60, s60, 0                                  // 000000004828: 853C803C
	s_add_u32 s12, s60, s12                                    // 00000000482C: 800C0C3C
	s_addc_u32 s13, 0, s13                                     // 000000004830: 820D0D80
	buffer_load_dword v188, v1, s[12:15], 0 idxen              // 000000004834: E0502000 8003BC01
	buffer_load_dword v189, v2, s[12:15], 0 idxen              // 00000000483C: E0502000 8003BD02
	buffer_load_dword v190, v3, s[12:15], 0 idxen              // 000000004844: E0502000 8003BE03
	buffer_load_dword v191, v4, s[12:15], 0 idxen              // 00000000484C: E0502000 8003BF04
	s_mul_i32 s60, 16, s7                                      // 000000004854: 923C0790
	s_cmp_lt_i32 2, s73                                        // 000000004858: BF044982
	s_cselect_b32 s60, s60, 0                                  // 00000000485C: 853C803C
	s_add_u32 s12, s60, s12                                    // 000000004860: 800C0C3C
	s_addc_u32 s13, 0, s13                                     // 000000004864: 820D0D80
	buffer_load_dword v192, v1, s[12:15], 0 idxen              // 000000004868: E0502000 8003C001
	buffer_load_dword v193, v2, s[12:15], 0 idxen              // 000000004870: E0502000 8003C102
	buffer_load_dword v194, v3, s[12:15], 0 idxen              // 000000004878: E0502000 8003C203
	buffer_load_dword v195, v4, s[12:15], 0 idxen              // 000000004880: E0502000 8003C304
	s_mul_i32 s60, 16, s7                                      // 000000004888: 923C0790
	s_cmp_lt_i32 2, s73                                        // 00000000488C: BF044982
	s_cselect_b32 s60, s60, 0                                  // 000000004890: 853C803C
	s_add_u32 s12, s60, s12                                    // 000000004894: 800C0C3C
	s_addc_u32 s13, 0, s13                                     // 000000004898: 820D0D80
	buffer_load_dword v196, v1, s[12:15], 0 idxen              // 00000000489C: E0502000 8003C401
	buffer_load_dword v197, v2, s[12:15], 0 idxen              // 0000000048A4: E0502000 8003C502
	buffer_load_dword v198, v3, s[12:15], 0 idxen              // 0000000048AC: E0502000 8003C603
	buffer_load_dword v199, v4, s[12:15], 0 idxen              // 0000000048B4: E0502000 8003C704
	s_mul_i32 s60, 16, s7                                      // 0000000048BC: 923C0790
	s_cmp_lt_i32 3, s73                                        // 0000000048C0: BF044983
	s_cselect_b32 s60, s60, 0                                  // 0000000048C4: 853C803C
	s_add_u32 s12, s60, s12                                    // 0000000048C8: 800C0C3C
	s_addc_u32 s13, 0, s13                                     // 0000000048CC: 820D0D80
	s_waitcnt vmcnt(32) lgkmcnt(0)                             // 0000000048D0: BF8C8070
	s_barrier                                                  // 0000000048D4: BF8A0000
	s_cmp_lt_i32 0, s73                                        // 0000000048D8: BF044980
	s_cbranch_scc1 label_02C8                                  // 0000000048DC: BF850010
	v_mov_b32_e32 v152, 0                                      // 0000000048E0: 7F300280
	v_mov_b32_e32 v153, 0                                      // 0000000048E4: 7F320280
	v_mov_b32_e32 v154, 0                                      // 0000000048E8: 7F340280
	v_mov_b32_e32 v155, 0                                      // 0000000048EC: 7F360280
	v_mov_b32_e32 v156, 0                                      // 0000000048F0: 7F380280
	v_mov_b32_e32 v157, 0                                      // 0000000048F4: 7F3A0280
	v_mov_b32_e32 v158, 0                                      // 0000000048F8: 7F3C0280
	v_mov_b32_e32 v159, 0                                      // 0000000048FC: 7F3E0280
	v_mov_b32_e32 v160, 0                                      // 000000004900: 7F400280
	v_mov_b32_e32 v161, 0                                      // 000000004904: 7F420280
	v_mov_b32_e32 v162, 0                                      // 000000004908: 7F440280
	v_mov_b32_e32 v163, 0                                      // 00000000490C: 7F460280
	v_mov_b32_e32 v164, 0                                      // 000000004910: 7F480280
	v_mov_b32_e32 v165, 0                                      // 000000004914: 7F4A0280
	v_mov_b32_e32 v166, 0                                      // 000000004918: 7F4C0280
	v_mov_b32_e32 v167, 0                                      // 00000000491C: 7F4E0280

0000000000004920 <label_02C8>:
	v_perm_b32 v200, v153, v152, s63                           // 000000004920: D1ED00C8 00FF3199
	v_perm_b32 v201, v153, v152, s64                           // 000000004928: D1ED00C9 01033199
	v_perm_b32 v202, v155, v154, s63                           // 000000004930: D1ED00CA 00FF359B
	v_perm_b32 v203, v155, v154, s64                           // 000000004938: D1ED00CB 0103359B
	v_perm_b32 v204, v157, v156, s63                           // 000000004940: D1ED00CC 00FF399D
	v_perm_b32 v205, v157, v156, s64                           // 000000004948: D1ED00CD 0103399D
	v_perm_b32 v206, v159, v158, s63                           // 000000004950: D1ED00CE 00FF3D9F
	v_perm_b32 v207, v159, v158, s64                           // 000000004958: D1ED00CF 01033D9F
	v_perm_b32 v208, v161, v160, s63                           // 000000004960: D1ED00D0 00FF41A1
	v_perm_b32 v209, v161, v160, s64                           // 000000004968: D1ED00D1 010341A1
	v_perm_b32 v210, v163, v162, s63                           // 000000004970: D1ED00D2 00FF45A3
	v_perm_b32 v211, v163, v162, s64                           // 000000004978: D1ED00D3 010345A3
	v_perm_b32 v212, v165, v164, s63                           // 000000004980: D1ED00D4 00FF49A5
	v_perm_b32 v213, v165, v164, s64                           // 000000004988: D1ED00D5 010349A5
	v_perm_b32 v214, v167, v166, s63                           // 000000004990: D1ED00D6 00FF4DA7
	v_perm_b32 v215, v167, v166, s64                           // 000000004998: D1ED00D7 01034DA7
	ds_write_b32 v13, v200 offset:17408                        // 0000000049A0: D81A4400 0000C80D
	ds_write_b32 v13, v201 offset:18464                        // 0000000049A8: D81A4820 0000C90D
	ds_write_b32 v13, v202 offset:17536                        // 0000000049B0: D81A4480 0000CA0D
	ds_write_b32 v13, v203 offset:18592                        // 0000000049B8: D81A48A0 0000CB0D
	ds_write_b32 v13, v204 offset:21760                        // 0000000049C0: D81A5500 0000CC0D
	ds_write_b32 v13, v205 offset:22816                        // 0000000049C8: D81A5920 0000CD0D
	ds_write_b32 v13, v206 offset:21888                        // 0000000049D0: D81A5580 0000CE0D
	ds_write_b32 v13, v207 offset:22944                        // 0000000049D8: D81A59A0 0000CF0D
	ds_write_b32 v13, v208 offset:26112                        // 0000000049E0: D81A6600 0000D00D
	ds_write_b32 v13, v209 offset:27168                        // 0000000049E8: D81A6A20 0000D10D
	ds_write_b32 v13, v210 offset:26240                        // 0000000049F0: D81A6680 0000D20D
	ds_write_b32 v13, v211 offset:27296                        // 0000000049F8: D81A6AA0 0000D30D
	ds_write_b32 v13, v212 offset:30464                        // 000000004A00: D81A7700 0000D40D
	ds_write_b32 v13, v213 offset:31520                        // 000000004A08: D81A7B20 0000D50D
	ds_write_b32 v13, v214 offset:30592                        // 000000004A10: D81A7780 0000D60D
	ds_write_b32 v13, v215 offset:31648                        // 000000004A18: D81A7BA0 0000D70D
	ds_write_b32 v11, v152                                     // 000000004A20: D81A0000 0000980B
	ds_write_b32 v11, v153 offset:1056                         // 000000004A28: D81A0420 0000990B
	ds_write_b32 v11, v154 offset:128                          // 000000004A30: D81A0080 00009A0B
	ds_write_b32 v11, v155 offset:1184                         // 000000004A38: D81A04A0 00009B0B
	ds_write_b32 v11, v156 offset:4352                         // 000000004A40: D81A1100 00009C0B
	ds_write_b32 v11, v157 offset:5408                         // 000000004A48: D81A1520 00009D0B
	ds_write_b32 v11, v158 offset:4480                         // 000000004A50: D81A1180 00009E0B
	ds_write_b32 v11, v159 offset:5536                         // 000000004A58: D81A15A0 00009F0B
	ds_write_b32 v11, v160 offset:8704                         // 000000004A60: D81A2200 0000A00B
	ds_write_b32 v11, v161 offset:9760                         // 000000004A68: D81A2620 0000A10B
	ds_write_b32 v11, v162 offset:8832                         // 000000004A70: D81A2280 0000A20B
	ds_write_b32 v11, v163 offset:9888                         // 000000004A78: D81A26A0 0000A30B
	ds_write_b32 v11, v164 offset:13056                        // 000000004A80: D81A3300 0000A40B
	ds_write_b32 v11, v165 offset:14112                        // 000000004A88: D81A3720 0000A50B
	ds_write_b32 v11, v166 offset:13184                        // 000000004A90: D81A3380 0000A60B
	ds_write_b32 v11, v167 offset:14240                        // 000000004A98: D81A37A0 0000A70B
	buffer_load_dword v152, v1, s[16:19], 0 idxen              // 000000004AA0: E0502000 80049801
	buffer_load_dword v153, v2, s[16:19], 0 idxen              // 000000004AA8: E0502000 80049902
	buffer_load_dword v154, v3, s[16:19], 0 idxen              // 000000004AB0: E0502000 80049A03
	buffer_load_dword v155, v4, s[16:19], 0 idxen              // 000000004AB8: E0502000 80049B04
	s_mul_i32 s60, 16, s7                                      // 000000004AC0: 923C0790
	s_cmp_lt_i32 0, s73                                        // 000000004AC4: BF044980
	s_cselect_b32 s60, s60, 0                                  // 000000004AC8: 853C803C
	s_add_u32 s16, s60, s16                                    // 000000004ACC: 8010103C
	s_addc_u32 s17, 0, s17                                     // 000000004AD0: 82111180
	buffer_load_dword v156, v1, s[16:19], 0 idxen              // 000000004AD4: E0502000 80049C01
	buffer_load_dword v157, v2, s[16:19], 0 idxen              // 000000004ADC: E0502000 80049D02
	buffer_load_dword v158, v3, s[16:19], 0 idxen              // 000000004AE4: E0502000 80049E03
	buffer_load_dword v159, v4, s[16:19], 0 idxen              // 000000004AEC: E0502000 80049F04
	s_mul_i32 s60, 16, s7                                      // 000000004AF4: 923C0790
	s_cmp_lt_i32 0, s73                                        // 000000004AF8: BF044980
	s_cselect_b32 s60, s60, 0                                  // 000000004AFC: 853C803C
	s_add_u32 s16, s60, s16                                    // 000000004B00: 8010103C
	s_addc_u32 s17, 0, s17                                     // 000000004B04: 82111180
	buffer_load_dword v160, v1, s[16:19], 0 idxen              // 000000004B08: E0502000 8004A001
	buffer_load_dword v161, v2, s[16:19], 0 idxen              // 000000004B10: E0502000 8004A102
	buffer_load_dword v162, v3, s[16:19], 0 idxen              // 000000004B18: E0502000 8004A203
	buffer_load_dword v163, v4, s[16:19], 0 idxen              // 000000004B20: E0502000 8004A304
	s_mul_i32 s60, 16, s7                                      // 000000004B28: 923C0790
	s_cmp_lt_i32 0, s73                                        // 000000004B2C: BF044980
	s_cselect_b32 s60, s60, 0                                  // 000000004B30: 853C803C
	s_add_u32 s16, s60, s16                                    // 000000004B34: 8010103C
	s_addc_u32 s17, 0, s17                                     // 000000004B38: 82111180
	buffer_load_dword v164, v1, s[16:19], 0 idxen              // 000000004B3C: E0502000 8004A401
	buffer_load_dword v165, v2, s[16:19], 0 idxen              // 000000004B44: E0502000 8004A502
	buffer_load_dword v166, v3, s[16:19], 0 idxen              // 000000004B4C: E0502000 8004A603
	buffer_load_dword v167, v4, s[16:19], 0 idxen              // 000000004B54: E0502000 8004A704
	s_mul_i32 s60, 16, s7                                      // 000000004B5C: 923C0790
	s_cmp_lt_i32 1, s73                                        // 000000004B60: BF044981
	s_cselect_b32 s60, s60, 0                                  // 000000004B64: 853C803C
	s_add_u32 s16, s60, s16                                    // 000000004B68: 8010103C
	s_addc_u32 s17, 0, s17                                     // 000000004B6C: 82111180
	s_waitcnt lgkmcnt(0)                                       // 000000004B70: BF8CC07F
	s_barrier                                                  // 000000004B74: BF8A0000
	ds_read_b128 a[48:51], v23 offset:17408                    // 000000004B78: DBFE4400 30000017
	ds_read_b128 a[52:55], v23 offset:17664                    // 000000004B80: DBFE4500 34000017
	ds_read_b128 a[56:59], v23 offset:26112                    // 000000004B88: DBFE6600 38000017
	ds_read_b128 a[60:63], v23 offset:26368                    // 000000004B90: DBFE6700 3C000017
	ds_read_b128 a[0:3], v22                                   // 000000004B98: DBFE0000 00000016
	ds_read_b128 a[4:7], v22 offset:512                        // 000000004BA0: DBFE0200 04000016
	ds_read_b128 a[8:11], v22 offset:2176                      // 000000004BA8: DBFE0880 08000016
	ds_read_b128 a[12:15], v22 offset:2688                     // 000000004BB0: DBFE0A80 0C000016
	s_waitcnt vmcnt(32) lgkmcnt(0)                             // 000000004BB8: BF8C8070
	s_barrier                                                  // 000000004BBC: BF8A0000
	s_cmp_lt_i32 1, s73                                        // 000000004BC0: BF044981
	s_cbranch_scc1 label_0382                                  // 000000004BC4: BF850010
	v_mov_b32_e32 v168, 0                                      // 000000004BC8: 7F500280
	v_mov_b32_e32 v169, 0                                      // 000000004BCC: 7F520280
	v_mov_b32_e32 v170, 0                                      // 000000004BD0: 7F540280
	v_mov_b32_e32 v171, 0                                      // 000000004BD4: 7F560280
	v_mov_b32_e32 v172, 0                                      // 000000004BD8: 7F580280
	v_mov_b32_e32 v173, 0                                      // 000000004BDC: 7F5A0280
	v_mov_b32_e32 v174, 0                                      // 000000004BE0: 7F5C0280
	v_mov_b32_e32 v175, 0                                      // 000000004BE4: 7F5E0280
	v_mov_b32_e32 v176, 0                                      // 000000004BE8: 7F600280
	v_mov_b32_e32 v177, 0                                      // 000000004BEC: 7F620280
	v_mov_b32_e32 v178, 0                                      // 000000004BF0: 7F640280
	v_mov_b32_e32 v179, 0                                      // 000000004BF4: 7F660280
	v_mov_b32_e32 v180, 0                                      // 000000004BF8: 7F680280
	v_mov_b32_e32 v181, 0                                      // 000000004BFC: 7F6A0280
	v_mov_b32_e32 v182, 0                                      // 000000004C00: 7F6C0280
	v_mov_b32_e32 v183, 0                                      // 000000004C04: 7F6E0280

0000000000004c08 <label_0382>:
	v_perm_b32 v200, v169, v168, s63                           // 000000004C08: D1ED00C8 00FF51A9
	v_perm_b32 v201, v169, v168, s64                           // 000000004C10: D1ED00C9 010351A9
	v_perm_b32 v202, v171, v170, s63                           // 000000004C18: D1ED00CA 00FF55AB
	v_perm_b32 v203, v171, v170, s64                           // 000000004C20: D1ED00CB 010355AB
	v_perm_b32 v204, v173, v172, s63                           // 000000004C28: D1ED00CC 00FF59AD
	v_perm_b32 v205, v173, v172, s64                           // 000000004C30: D1ED00CD 010359AD
	v_perm_b32 v206, v175, v174, s63                           // 000000004C38: D1ED00CE 00FF5DAF
	v_perm_b32 v207, v175, v174, s64                           // 000000004C40: D1ED00CF 01035DAF
	v_perm_b32 v208, v177, v176, s63                           // 000000004C48: D1ED00D0 00FF61B1
	v_perm_b32 v209, v177, v176, s64                           // 000000004C50: D1ED00D1 010361B1
	v_perm_b32 v210, v179, v178, s63                           // 000000004C58: D1ED00D2 00FF65B3
	v_perm_b32 v211, v179, v178, s64                           // 000000004C60: D1ED00D3 010365B3
	v_perm_b32 v212, v181, v180, s63                           // 000000004C68: D1ED00D4 00FF69B5
	v_perm_b32 v213, v181, v180, s64                           // 000000004C70: D1ED00D5 010369B5
	v_perm_b32 v214, v183, v182, s63                           // 000000004C78: D1ED00D6 00FF6DB7
	v_perm_b32 v215, v183, v182, s64                           // 000000004C80: D1ED00D7 01036DB7
	ds_write_b32 v13, v200 offset:17408                        // 000000004C88: D81A4400 0000C80D
	ds_write_b32 v13, v201 offset:18464                        // 000000004C90: D81A4820 0000C90D
	ds_write_b32 v13, v202 offset:17536                        // 000000004C98: D81A4480 0000CA0D
	ds_write_b32 v13, v203 offset:18592                        // 000000004CA0: D81A48A0 0000CB0D
	ds_write_b32 v13, v204 offset:21760                        // 000000004CA8: D81A5500 0000CC0D
	ds_write_b32 v13, v205 offset:22816                        // 000000004CB0: D81A5920 0000CD0D
	ds_write_b32 v13, v206 offset:21888                        // 000000004CB8: D81A5580 0000CE0D
	ds_write_b32 v13, v207 offset:22944                        // 000000004CC0: D81A59A0 0000CF0D
	ds_write_b32 v13, v208 offset:26112                        // 000000004CC8: D81A6600 0000D00D
	ds_write_b32 v13, v209 offset:27168                        // 000000004CD0: D81A6A20 0000D10D
	ds_write_b32 v13, v210 offset:26240                        // 000000004CD8: D81A6680 0000D20D
	ds_write_b32 v13, v211 offset:27296                        // 000000004CE0: D81A6AA0 0000D30D
	ds_write_b32 v13, v212 offset:30464                        // 000000004CE8: D81A7700 0000D40D
	ds_write_b32 v13, v213 offset:31520                        // 000000004CF0: D81A7B20 0000D50D
	ds_write_b32 v13, v214 offset:30592                        // 000000004CF8: D81A7780 0000D60D
	ds_write_b32 v13, v215 offset:31648                        // 000000004D00: D81A7BA0 0000D70D
	ds_write_b32 v11, v168                                     // 000000004D08: D81A0000 0000A80B
	ds_write_b32 v11, v169 offset:1056                         // 000000004D10: D81A0420 0000A90B
	ds_write_b32 v11, v170 offset:128                          // 000000004D18: D81A0080 0000AA0B
	ds_write_b32 v11, v171 offset:1184                         // 000000004D20: D81A04A0 0000AB0B
	ds_write_b32 v11, v172 offset:4352                         // 000000004D28: D81A1100 0000AC0B
	ds_write_b32 v11, v173 offset:5408                         // 000000004D30: D81A1520 0000AD0B
	ds_write_b32 v11, v174 offset:4480                         // 000000004D38: D81A1180 0000AE0B
	ds_write_b32 v11, v175 offset:5536                         // 000000004D40: D81A15A0 0000AF0B
	ds_write_b32 v11, v176 offset:8704                         // 000000004D48: D81A2200 0000B00B
	ds_write_b32 v11, v177 offset:9760                         // 000000004D50: D81A2620 0000B10B
	ds_write_b32 v11, v178 offset:8832                         // 000000004D58: D81A2280 0000B20B
	ds_write_b32 v11, v179 offset:9888                         // 000000004D60: D81A26A0 0000B30B
	ds_write_b32 v11, v180 offset:13056                        // 000000004D68: D81A3300 0000B40B
	ds_write_b32 v11, v181 offset:14112                        // 000000004D70: D81A3720 0000B50B
	ds_write_b32 v11, v182 offset:13184                        // 000000004D78: D81A3380 0000B60B
	ds_write_b32 v11, v183 offset:14240                        // 000000004D80: D81A37A0 0000B70B
	buffer_load_dword v168, v1, s[16:19], 0 idxen              // 000000004D88: E0502000 8004A801
	buffer_load_dword v169, v2, s[16:19], 0 idxen              // 000000004D90: E0502000 8004A902
	buffer_load_dword v170, v3, s[16:19], 0 idxen              // 000000004D98: E0502000 8004AA03
	buffer_load_dword v171, v4, s[16:19], 0 idxen              // 000000004DA0: E0502000 8004AB04
	s_mul_i32 s60, 16, s7                                      // 000000004DA8: 923C0790
	s_cmp_lt_i32 1, s73                                        // 000000004DAC: BF044981
	s_cselect_b32 s60, s60, 0                                  // 000000004DB0: 853C803C
	s_add_u32 s16, s60, s16                                    // 000000004DB4: 8010103C
	s_addc_u32 s17, 0, s17                                     // 000000004DB8: 82111180
	buffer_load_dword v172, v1, s[16:19], 0 idxen              // 000000004DBC: E0502000 8004AC01
	buffer_load_dword v173, v2, s[16:19], 0 idxen              // 000000004DC4: E0502000 8004AD02
	buffer_load_dword v174, v3, s[16:19], 0 idxen              // 000000004DCC: E0502000 8004AE03
	buffer_load_dword v175, v4, s[16:19], 0 idxen              // 000000004DD4: E0502000 8004AF04
	s_mul_i32 s60, 16, s7                                      // 000000004DDC: 923C0790
	s_cmp_lt_i32 1, s73                                        // 000000004DE0: BF044981
	s_cselect_b32 s60, s60, 0                                  // 000000004DE4: 853C803C
	s_add_u32 s16, s60, s16                                    // 000000004DE8: 8010103C
	s_addc_u32 s17, 0, s17                                     // 000000004DEC: 82111180
	buffer_load_dword v176, v1, s[16:19], 0 idxen              // 000000004DF0: E0502000 8004B001
	buffer_load_dword v177, v2, s[16:19], 0 idxen              // 000000004DF8: E0502000 8004B102
	buffer_load_dword v178, v3, s[16:19], 0 idxen              // 000000004E00: E0502000 8004B203
	buffer_load_dword v179, v4, s[16:19], 0 idxen              // 000000004E08: E0502000 8004B304
	s_mul_i32 s60, 16, s7                                      // 000000004E10: 923C0790
	s_cmp_lt_i32 1, s73                                        // 000000004E14: BF044981
	s_cselect_b32 s60, s60, 0                                  // 000000004E18: 853C803C
	s_add_u32 s16, s60, s16                                    // 000000004E1C: 8010103C
	s_addc_u32 s17, 0, s17                                     // 000000004E20: 82111180
	buffer_load_dword v180, v1, s[16:19], 0 idxen              // 000000004E24: E0502000 8004B401
	buffer_load_dword v181, v2, s[16:19], 0 idxen              // 000000004E2C: E0502000 8004B502
	buffer_load_dword v182, v3, s[16:19], 0 idxen              // 000000004E34: E0502000 8004B603
	buffer_load_dword v183, v4, s[16:19], 0 idxen              // 000000004E3C: E0502000 8004B704
	s_mul_i32 s60, 16, s7                                      // 000000004E44: 923C0790
	s_cmp_lt_i32 2, s73                                        // 000000004E48: BF044982
	s_cselect_b32 s60, s60, 0                                  // 000000004E4C: 853C803C
	s_add_u32 s16, s60, s16                                    // 000000004E50: 8010103C
	s_addc_u32 s17, 0, s17                                     // 000000004E54: 82111180
	s_waitcnt lgkmcnt(0)                                       // 000000004E58: BF8CC07F
	s_barrier                                                  // 000000004E5C: BF8A0000
	ds_read_b128 a[64:67], v23 offset:17408                    // 000000004E60: DBFE4400 40000017
	ds_read_b128 a[68:71], v23 offset:17664                    // 000000004E68: DBFE4500 44000017
	ds_read_b128 a[72:75], v23 offset:26112                    // 000000004E70: DBFE6600 48000017
	ds_read_b128 a[76:79], v23 offset:26368                    // 000000004E78: DBFE6700 4C000017
	ds_read_b128 a[16:19], v22                                 // 000000004E80: DBFE0000 10000016
	ds_read_b128 a[20:23], v22 offset:512                      // 000000004E88: DBFE0200 14000016
	ds_read_b128 a[24:27], v22 offset:2176                     // 000000004E90: DBFE0880 18000016
	ds_read_b128 a[28:31], v22 offset:2688                     // 000000004E98: DBFE0A80 1C000016
	s_waitcnt vmcnt(32) lgkmcnt(0)                             // 000000004EA0: BF8C8070
	s_barrier                                                  // 000000004EA4: BF8A0000
	s_cmp_lt_i32 2, s73                                        // 000000004EA8: BF044982
	s_cbranch_scc1 label_043C                                  // 000000004EAC: BF850010
	v_mov_b32_e32 v184, 0                                      // 000000004EB0: 7F700280
	v_mov_b32_e32 v185, 0                                      // 000000004EB4: 7F720280
	v_mov_b32_e32 v186, 0                                      // 000000004EB8: 7F740280
	v_mov_b32_e32 v187, 0                                      // 000000004EBC: 7F760280
	v_mov_b32_e32 v188, 0                                      // 000000004EC0: 7F780280
	v_mov_b32_e32 v189, 0                                      // 000000004EC4: 7F7A0280
	v_mov_b32_e32 v190, 0                                      // 000000004EC8: 7F7C0280
	v_mov_b32_e32 v191, 0                                      // 000000004ECC: 7F7E0280
	v_mov_b32_e32 v192, 0                                      // 000000004ED0: 7F800280
	v_mov_b32_e32 v193, 0                                      // 000000004ED4: 7F820280
	v_mov_b32_e32 v194, 0                                      // 000000004ED8: 7F840280
	v_mov_b32_e32 v195, 0                                      // 000000004EDC: 7F860280
	v_mov_b32_e32 v196, 0                                      // 000000004EE0: 7F880280
	v_mov_b32_e32 v197, 0                                      // 000000004EE4: 7F8A0280
	v_mov_b32_e32 v198, 0                                      // 000000004EE8: 7F8C0280
	v_mov_b32_e32 v199, 0                                      // 000000004EEC: 7F8E0280

0000000000004ef0 <label_043C>:
	v_perm_b32 v200, v185, v184, s63                           // 000000004EF0: D1ED00C8 00FF71B9
	v_perm_b32 v201, v185, v184, s64                           // 000000004EF8: D1ED00C9 010371B9
	v_perm_b32 v202, v187, v186, s63                           // 000000004F00: D1ED00CA 00FF75BB
	v_perm_b32 v203, v187, v186, s64                           // 000000004F08: D1ED00CB 010375BB
	v_perm_b32 v204, v189, v188, s63                           // 000000004F10: D1ED00CC 00FF79BD
	v_perm_b32 v205, v189, v188, s64                           // 000000004F18: D1ED00CD 010379BD
	v_perm_b32 v206, v191, v190, s63                           // 000000004F20: D1ED00CE 00FF7DBF
	v_perm_b32 v207, v191, v190, s64                           // 000000004F28: D1ED00CF 01037DBF
	v_perm_b32 v208, v193, v192, s63                           // 000000004F30: D1ED00D0 00FF81C1
	v_perm_b32 v209, v193, v192, s64                           // 000000004F38: D1ED00D1 010381C1
	v_perm_b32 v210, v195, v194, s63                           // 000000004F40: D1ED00D2 00FF85C3
	v_perm_b32 v211, v195, v194, s64                           // 000000004F48: D1ED00D3 010385C3
	v_perm_b32 v212, v197, v196, s63                           // 000000004F50: D1ED00D4 00FF89C5
	v_perm_b32 v213, v197, v196, s64                           // 000000004F58: D1ED00D5 010389C5
	v_perm_b32 v214, v199, v198, s63                           // 000000004F60: D1ED00D6 00FF8DC7
	v_perm_b32 v215, v199, v198, s64                           // 000000004F68: D1ED00D7 01038DC7
	ds_write_b32 v13, v200 offset:17408                        // 000000004F70: D81A4400 0000C80D
	ds_write_b32 v13, v201 offset:18464                        // 000000004F78: D81A4820 0000C90D
	ds_write_b32 v13, v202 offset:17536                        // 000000004F80: D81A4480 0000CA0D
	ds_write_b32 v13, v203 offset:18592                        // 000000004F88: D81A48A0 0000CB0D
	ds_write_b32 v13, v204 offset:21760                        // 000000004F90: D81A5500 0000CC0D
	ds_write_b32 v13, v205 offset:22816                        // 000000004F98: D81A5920 0000CD0D
	ds_write_b32 v13, v206 offset:21888                        // 000000004FA0: D81A5580 0000CE0D
	ds_write_b32 v13, v207 offset:22944                        // 000000004FA8: D81A59A0 0000CF0D
	ds_write_b32 v13, v208 offset:26112                        // 000000004FB0: D81A6600 0000D00D
	ds_write_b32 v13, v209 offset:27168                        // 000000004FB8: D81A6A20 0000D10D
	ds_write_b32 v13, v210 offset:26240                        // 000000004FC0: D81A6680 0000D20D
	ds_write_b32 v13, v211 offset:27296                        // 000000004FC8: D81A6AA0 0000D30D
	ds_write_b32 v13, v212 offset:30464                        // 000000004FD0: D81A7700 0000D40D
	ds_write_b32 v13, v213 offset:31520                        // 000000004FD8: D81A7B20 0000D50D
	ds_write_b32 v13, v214 offset:30592                        // 000000004FE0: D81A7780 0000D60D
	ds_write_b32 v13, v215 offset:31648                        // 000000004FE8: D81A7BA0 0000D70D
	ds_write_b32 v11, v184                                     // 000000004FF0: D81A0000 0000B80B
	ds_write_b32 v11, v185 offset:1056                         // 000000004FF8: D81A0420 0000B90B
	ds_write_b32 v11, v186 offset:128                          // 000000005000: D81A0080 0000BA0B
	ds_write_b32 v11, v187 offset:1184                         // 000000005008: D81A04A0 0000BB0B
	ds_write_b32 v11, v188 offset:4352                         // 000000005010: D81A1100 0000BC0B
	ds_write_b32 v11, v189 offset:5408                         // 000000005018: D81A1520 0000BD0B
	ds_write_b32 v11, v190 offset:4480                         // 000000005020: D81A1180 0000BE0B
	ds_write_b32 v11, v191 offset:5536                         // 000000005028: D81A15A0 0000BF0B
	ds_write_b32 v11, v192 offset:8704                         // 000000005030: D81A2200 0000C00B
	ds_write_b32 v11, v193 offset:9760                         // 000000005038: D81A2620 0000C10B
	ds_write_b32 v11, v194 offset:8832                         // 000000005040: D81A2280 0000C20B
	ds_write_b32 v11, v195 offset:9888                         // 000000005048: D81A26A0 0000C30B
	ds_write_b32 v11, v196 offset:13056                        // 000000005050: D81A3300 0000C40B
	ds_write_b32 v11, v197 offset:14112                        // 000000005058: D81A3720 0000C50B
	ds_write_b32 v11, v198 offset:13184                        // 000000005060: D81A3380 0000C60B
	ds_write_b32 v11, v199 offset:14240                        // 000000005068: D81A37A0 0000C70B
	buffer_load_dword v184, v1, s[16:19], 0 idxen              // 000000005070: E0502000 8004B801
	buffer_load_dword v185, v2, s[16:19], 0 idxen              // 000000005078: E0502000 8004B902
	buffer_load_dword v186, v3, s[16:19], 0 idxen              // 000000005080: E0502000 8004BA03
	buffer_load_dword v187, v4, s[16:19], 0 idxen              // 000000005088: E0502000 8004BB04
	s_mul_i32 s60, 16, s7                                      // 000000005090: 923C0790
	s_cmp_lt_i32 2, s73                                        // 000000005094: BF044982
	s_cselect_b32 s60, s60, 0                                  // 000000005098: 853C803C
	s_add_u32 s16, s60, s16                                    // 00000000509C: 8010103C
	s_addc_u32 s17, 0, s17                                     // 0000000050A0: 82111180
	buffer_load_dword v188, v1, s[16:19], 0 idxen              // 0000000050A4: E0502000 8004BC01
	buffer_load_dword v189, v2, s[16:19], 0 idxen              // 0000000050AC: E0502000 8004BD02
	buffer_load_dword v190, v3, s[16:19], 0 idxen              // 0000000050B4: E0502000 8004BE03
	buffer_load_dword v191, v4, s[16:19], 0 idxen              // 0000000050BC: E0502000 8004BF04
	s_mul_i32 s60, 16, s7                                      // 0000000050C4: 923C0790
	s_cmp_lt_i32 2, s73                                        // 0000000050C8: BF044982
	s_cselect_b32 s60, s60, 0                                  // 0000000050CC: 853C803C
	s_add_u32 s16, s60, s16                                    // 0000000050D0: 8010103C
	s_addc_u32 s17, 0, s17                                     // 0000000050D4: 82111180
	buffer_load_dword v192, v1, s[16:19], 0 idxen              // 0000000050D8: E0502000 8004C001
	buffer_load_dword v193, v2, s[16:19], 0 idxen              // 0000000050E0: E0502000 8004C102
	buffer_load_dword v194, v3, s[16:19], 0 idxen              // 0000000050E8: E0502000 8004C203
	buffer_load_dword v195, v4, s[16:19], 0 idxen              // 0000000050F0: E0502000 8004C304
	s_mul_i32 s60, 16, s7                                      // 0000000050F8: 923C0790
	s_cmp_lt_i32 2, s73                                        // 0000000050FC: BF044982
	s_cselect_b32 s60, s60, 0                                  // 000000005100: 853C803C
	s_add_u32 s16, s60, s16                                    // 000000005104: 8010103C
	s_addc_u32 s17, 0, s17                                     // 000000005108: 82111180
	buffer_load_dword v196, v1, s[16:19], 0 idxen              // 00000000510C: E0502000 8004C401
	buffer_load_dword v197, v2, s[16:19], 0 idxen              // 000000005114: E0502000 8004C502
	buffer_load_dword v198, v3, s[16:19], 0 idxen              // 00000000511C: E0502000 8004C603
	buffer_load_dword v199, v4, s[16:19], 0 idxen              // 000000005124: E0502000 8004C704
	s_mul_i32 s60, 16, s7                                      // 00000000512C: 923C0790
	s_cmp_lt_i32 3, s73                                        // 000000005130: BF044983
	s_cselect_b32 s60, s60, 0                                  // 000000005134: 853C803C
	s_add_u32 s16, s60, s16                                    // 000000005138: 8010103C
	s_addc_u32 s17, 0, s17                                     // 00000000513C: 82111180
	s_waitcnt lgkmcnt(0)                                       // 000000005140: BF8CC07F
	s_barrier                                                  // 000000005144: BF8A0000
	ds_read_b128 a[80:83], v23 offset:17408                    // 000000005148: DBFE4400 50000017
	ds_read_b128 a[84:87], v23 offset:17664                    // 000000005150: DBFE4500 54000017
	ds_read_b128 a[88:91], v23 offset:26112                    // 000000005158: DBFE6600 58000017
	ds_read_b128 a[92:95], v23 offset:26368                    // 000000005160: DBFE6700 5C000017
	ds_read_b128 a[32:35], v22                                 // 000000005168: DBFE0000 20000016
	ds_read_b128 a[36:39], v22 offset:512                      // 000000005170: DBFE0200 24000016
	ds_read_b128 a[40:43], v22 offset:2176                     // 000000005178: DBFE0880 28000016
	ds_read_b128 a[44:47], v22 offset:2688                     // 000000005180: DBFE0A80 2C000016
	s_waitcnt vmcnt(32) lgkmcnt(0)                             // 000000005188: BF8C8070
	s_barrier                                                  // 00000000518C: BF8A0000
	s_cmp_lt_i32 0, s73                                        // 000000005190: BF044980
	s_cbranch_scc1 label_04F6                                  // 000000005194: BF850010
	v_mov_b32_e32 v152, 0                                      // 000000005198: 7F300280
	v_mov_b32_e32 v153, 0                                      // 00000000519C: 7F320280
	v_mov_b32_e32 v154, 0                                      // 0000000051A0: 7F340280
	v_mov_b32_e32 v155, 0                                      // 0000000051A4: 7F360280
	v_mov_b32_e32 v156, 0                                      // 0000000051A8: 7F380280
	v_mov_b32_e32 v157, 0                                      // 0000000051AC: 7F3A0280
	v_mov_b32_e32 v158, 0                                      // 0000000051B0: 7F3C0280
	v_mov_b32_e32 v159, 0                                      // 0000000051B4: 7F3E0280
	v_mov_b32_e32 v160, 0                                      // 0000000051B8: 7F400280
	v_mov_b32_e32 v161, 0                                      // 0000000051BC: 7F420280
	v_mov_b32_e32 v162, 0                                      // 0000000051C0: 7F440280
	v_mov_b32_e32 v163, 0                                      // 0000000051C4: 7F460280
	v_mov_b32_e32 v164, 0                                      // 0000000051C8: 7F480280
	v_mov_b32_e32 v165, 0                                      // 0000000051CC: 7F4A0280
	v_mov_b32_e32 v166, 0                                      // 0000000051D0: 7F4C0280
	v_mov_b32_e32 v167, 0                                      // 0000000051D4: 7F4E0280

00000000000051d8 <label_04F6>:
	ds_write_b32 v11, v152                                     // 0000000051D8: D81A0000 0000980B
	ds_write_b32 v11, v153 offset:1056                         // 0000000051E0: D81A0420 0000990B
	ds_write_b32 v11, v154 offset:128                          // 0000000051E8: D81A0080 00009A0B
	ds_write_b32 v11, v155 offset:1184                         // 0000000051F0: D81A04A0 00009B0B
	ds_write_b32 v11, v156 offset:4352                         // 0000000051F8: D81A1100 00009C0B
	ds_write_b32 v11, v157 offset:5408                         // 000000005200: D81A1520 00009D0B
	ds_write_b32 v11, v158 offset:4480                         // 000000005208: D81A1180 00009E0B
	ds_write_b32 v11, v159 offset:5536                         // 000000005210: D81A15A0 00009F0B
	ds_write_b32 v11, v160 offset:8704                         // 000000005218: D81A2200 0000A00B
	ds_write_b32 v11, v161 offset:9760                         // 000000005220: D81A2620 0000A10B
	ds_write_b32 v11, v162 offset:8832                         // 000000005228: D81A2280 0000A20B
	ds_write_b32 v11, v163 offset:9888                         // 000000005230: D81A26A0 0000A30B
	ds_write_b32 v11, v164 offset:13056                        // 000000005238: D81A3300 0000A40B
	ds_write_b32 v11, v165 offset:14112                        // 000000005240: D81A3720 0000A50B
	ds_write_b32 v11, v166 offset:13184                        // 000000005248: D81A3380 0000A60B
	ds_write_b32 v11, v167 offset:14240                        // 000000005250: D81A37A0 0000A70B
	s_mov_b32 s71, s70                                         // 000000005258: BEC70046
	v_lshrrev_b32_e32 v28, 4, v0                               // 00000000525C: 20380084
	v_and_b32_e32 v29, 1, v28                                  // 000000005260: 263A3881
	v_lshlrev_b32_e32 v29, 1, v29                              // 000000005264: 243A3A81
	v_mul_i32_i24_e32 v29, s71, v29                            // 000000005268: 0C3A3A47
	v_and_b32_e32 v30, 2, v28                                  // 00000000526C: 263C3882
	v_lshlrev_b32_e32 v30, 5, v30                              // 000000005270: 243C3C85
	v_add_u32_e32 v29, v30, v29                                // 000000005274: 683A3B1E
	v_and_b32_e32 v28, 15, v0                                  // 000000005278: 2638008F
	v_lshlrev_b32_e32 v28, 2, v28                              // 00000000527C: 24383882
	v_add_u32_e32 v1, v28, v29                                 // 000000005280: 68023B1C
	s_and_b32 s60, 1, s47                                      // 000000005284: 863C2F81
	s_mul_i32 s60, s60, s71                                    // 000000005288: 923C473C
	s_mul_i32 s60, s60, 8                                      // 00000000528C: 923C883C
	s_lshr_b32 s61, s47, 1                                     // 000000005290: 8F3D812F
	s_mul_i32 s61, s61, 0x80                                   // 000000005294: 923DFF3D 00000080
	s_add_u32 s60, s60, s61                                    // 00000000529C: 803C3D3C
	v_add_u32_e32 v1, s60, v1                                  // 0000000052A0: 6802023C
	v_add_u32_e32 v2, s71, v1                                  // 0000000052A4: 68040247
	s_mul_i32 s60, 4, s71                                      // 0000000052A8: 923C4784
	v_add_u32_e32 v3, s60, v1                                  // 0000000052AC: 6806023C
	v_add_u32_e32 v4, s60, v2                                  // 0000000052B0: 6808043C
	v_lshrrev_b32_e32 v1, 2, v1                                // 0000000052B4: 20020282
	v_lshrrev_b32_e32 v2, 2, v2                                // 0000000052B8: 20040482
	v_lshrrev_b32_e32 v3, 2, v3                                // 0000000052BC: 20060682
	v_lshrrev_b32_e32 v4, 2, v4                                // 0000000052C0: 20080882
	buffer_load_dword v32, v1, s[8:11], 0 idxen                // 0000000052C4: E0502000 80022001
	buffer_load_dword v33, v2, s[8:11], 0 idxen                // 0000000052CC: E0502000 80022102
	buffer_load_dword v34, v3, s[8:11], 0 idxen                // 0000000052D4: E0502000 80022203
	buffer_load_dword v35, v4, s[8:11], 0 idxen                // 0000000052DC: E0502000 80022304
	buffer_load_dword v40, v1, s[20:23], 0 idxen               // 0000000052E4: E0502000 80052801
	buffer_load_dword v41, v2, s[20:23], 0 idxen               // 0000000052EC: E0502000 80052902
	buffer_load_dword v42, v3, s[20:23], 0 idxen               // 0000000052F4: E0502000 80052A03
	buffer_load_dword v43, v4, s[20:23], 0 idxen               // 0000000052FC: E0502000 80052B04
	s_waitcnt lgkmcnt(0)                                       // 000000005304: BF8CC07F
	s_barrier                                                  // 000000005308: BF8A0000
	ds_read_b128 a[96:99], v22                                 // 00000000530C: DBFE0000 60000016
	ds_read_b128 a[100:103], v22 offset:512                    // 000000005314: DBFE0200 64000016
	ds_read_b128 a[104:107], v22 offset:2176                   // 00000000531C: DBFE0880 68000016
	ds_read_b128 a[108:111], v22 offset:2688                   // 000000005324: DBFE0A80 6C000016
	s_add_u32 s8, s68, s8                                      // 00000000532C: 80080844
	s_addc_u32 s9, 0, s9                                       // 000000005330: 82090980
	s_add_u32 s20, s68, s20                                    // 000000005334: 80141444
	s_addc_u32 s21, 0, s21                                     // 000000005338: 82151580
	s_waitcnt vmcnt(24) lgkmcnt(0)                             // 00000000533C: BF8C4078
	s_barrier                                                  // 000000005340: BF8A0000
	s_cmp_lt_i32 1, s73                                        // 000000005344: BF044981
	s_cbranch_scc1 label_0563                                  // 000000005348: BF850010
	v_mov_b32_e32 v168, 0                                      // 00000000534C: 7F500280
	v_mov_b32_e32 v169, 0                                      // 000000005350: 7F520280
	v_mov_b32_e32 v170, 0                                      // 000000005354: 7F540280
	v_mov_b32_e32 v171, 0                                      // 000000005358: 7F560280
	v_mov_b32_e32 v172, 0                                      // 00000000535C: 7F580280
	v_mov_b32_e32 v173, 0                                      // 000000005360: 7F5A0280
	v_mov_b32_e32 v174, 0                                      // 000000005364: 7F5C0280
	v_mov_b32_e32 v175, 0                                      // 000000005368: 7F5E0280
	v_mov_b32_e32 v176, 0                                      // 00000000536C: 7F600280
	v_mov_b32_e32 v177, 0                                      // 000000005370: 7F620280
	v_mov_b32_e32 v178, 0                                      // 000000005374: 7F640280
	v_mov_b32_e32 v179, 0                                      // 000000005378: 7F660280
	v_mov_b32_e32 v180, 0                                      // 00000000537C: 7F680280
	v_mov_b32_e32 v181, 0                                      // 000000005380: 7F6A0280
	v_mov_b32_e32 v182, 0                                      // 000000005384: 7F6C0280
	v_mov_b32_e32 v183, 0                                      // 000000005388: 7F6E0280

000000000000538c <label_0563>:
	ds_write_b32 v11, v168                                     // 00000000538C: D81A0000 0000A80B
	ds_write_b32 v11, v169 offset:1056                         // 000000005394: D81A0420 0000A90B
	ds_write_b32 v11, v170 offset:128                          // 00000000539C: D81A0080 0000AA0B
	ds_write_b32 v11, v171 offset:1184                         // 0000000053A4: D81A04A0 0000AB0B
	ds_write_b32 v11, v172 offset:4352                         // 0000000053AC: D81A1100 0000AC0B
	ds_write_b32 v11, v173 offset:5408                         // 0000000053B4: D81A1520 0000AD0B
	ds_write_b32 v11, v174 offset:4480                         // 0000000053BC: D81A1180 0000AE0B
	ds_write_b32 v11, v175 offset:5536                         // 0000000053C4: D81A15A0 0000AF0B
	ds_write_b32 v11, v176 offset:8704                         // 0000000053CC: D81A2200 0000B00B
	ds_write_b32 v11, v177 offset:9760                         // 0000000053D4: D81A2620 0000B10B
	ds_write_b32 v11, v178 offset:8832                         // 0000000053DC: D81A2280 0000B20B
	ds_write_b32 v11, v179 offset:9888                         // 0000000053E4: D81A26A0 0000B30B
	ds_write_b32 v11, v180 offset:13056                        // 0000000053EC: D81A3300 0000B40B
	ds_write_b32 v11, v181 offset:14112                        // 0000000053F4: D81A3720 0000B50B
	ds_write_b32 v11, v182 offset:13184                        // 0000000053FC: D81A3380 0000B60B
	ds_write_b32 v11, v183 offset:14240                        // 000000005404: D81A37A0 0000B70B
	buffer_load_dword v36, v1, s[8:11], 0 idxen                // 00000000540C: E0502000 80022401
	buffer_load_dword v37, v2, s[8:11], 0 idxen                // 000000005414: E0502000 80022502
	buffer_load_dword v38, v3, s[8:11], 0 idxen                // 00000000541C: E0502000 80022603
	buffer_load_dword v39, v4, s[8:11], 0 idxen                // 000000005424: E0502000 80022704
	buffer_load_dword v44, v1, s[20:23], 0 idxen               // 00000000542C: E0502000 80052C01
	buffer_load_dword v45, v2, s[20:23], 0 idxen               // 000000005434: E0502000 80052D02
	buffer_load_dword v46, v3, s[20:23], 0 idxen               // 00000000543C: E0502000 80052E03
	buffer_load_dword v47, v4, s[20:23], 0 idxen               // 000000005444: E0502000 80052F04
	s_waitcnt lgkmcnt(0)                                       // 00000000544C: BF8CC07F
	s_barrier                                                  // 000000005450: BF8A0000
	ds_read_b128 a[112:115], v22                               // 000000005454: DBFE0000 70000016
	ds_read_b128 a[116:119], v22 offset:512                    // 00000000545C: DBFE0200 74000016
	ds_read_b128 a[120:123], v22 offset:2176                   // 000000005464: DBFE0880 78000016
	ds_read_b128 a[124:127], v22 offset:2688                   // 00000000546C: DBFE0A80 7C000016
	s_add_u32 s8, s68, s8                                      // 000000005474: 80080844
	s_addc_u32 s9, 0, s9                                       // 000000005478: 82090980
	s_add_u32 s20, s68, s20                                    // 00000000547C: 80141444
	s_addc_u32 s21, 0, s21                                     // 000000005480: 82151580
	s_waitcnt vmcnt(16) lgkmcnt(0)                             // 000000005484: BF8C4070
	s_barrier                                                  // 000000005488: BF8A0000
	s_cmp_lt_i32 2, s73                                        // 00000000548C: BF044982
	s_cbranch_scc1 label_05B5                                  // 000000005490: BF850010
	v_mov_b32_e32 v184, 0                                      // 000000005494: 7F700280
	v_mov_b32_e32 v185, 0                                      // 000000005498: 7F720280
	v_mov_b32_e32 v186, 0                                      // 00000000549C: 7F740280
	v_mov_b32_e32 v187, 0                                      // 0000000054A0: 7F760280
	v_mov_b32_e32 v188, 0                                      // 0000000054A4: 7F780280
	v_mov_b32_e32 v189, 0                                      // 0000000054A8: 7F7A0280
	v_mov_b32_e32 v190, 0                                      // 0000000054AC: 7F7C0280
	v_mov_b32_e32 v191, 0                                      // 0000000054B0: 7F7E0280
	v_mov_b32_e32 v192, 0                                      // 0000000054B4: 7F800280
	v_mov_b32_e32 v193, 0                                      // 0000000054B8: 7F820280
	v_mov_b32_e32 v194, 0                                      // 0000000054BC: 7F840280
	v_mov_b32_e32 v195, 0                                      // 0000000054C0: 7F860280
	v_mov_b32_e32 v196, 0                                      // 0000000054C4: 7F880280
	v_mov_b32_e32 v197, 0                                      // 0000000054C8: 7F8A0280
	v_mov_b32_e32 v198, 0                                      // 0000000054CC: 7F8C0280
	v_mov_b32_e32 v199, 0                                      // 0000000054D0: 7F8E0280

00000000000054d4 <label_05B5>:
	ds_write_b32 v11, v184                                     // 0000000054D4: D81A0000 0000B80B
	ds_write_b32 v11, v185 offset:1056                         // 0000000054DC: D81A0420 0000B90B
	ds_write_b32 v11, v186 offset:128                          // 0000000054E4: D81A0080 0000BA0B
	ds_write_b32 v11, v187 offset:1184                         // 0000000054EC: D81A04A0 0000BB0B
	ds_write_b32 v11, v188 offset:4352                         // 0000000054F4: D81A1100 0000BC0B
	ds_write_b32 v11, v189 offset:5408                         // 0000000054FC: D81A1520 0000BD0B
	ds_write_b32 v11, v190 offset:4480                         // 000000005504: D81A1180 0000BE0B
	ds_write_b32 v11, v191 offset:5536                         // 00000000550C: D81A15A0 0000BF0B
	ds_write_b32 v11, v192 offset:8704                         // 000000005514: D81A2200 0000C00B
	ds_write_b32 v11, v193 offset:9760                         // 00000000551C: D81A2620 0000C10B
	ds_write_b32 v11, v194 offset:8832                         // 000000005524: D81A2280 0000C20B
	ds_write_b32 v11, v195 offset:9888                         // 00000000552C: D81A26A0 0000C30B
	ds_write_b32 v11, v196 offset:13056                        // 000000005534: D81A3300 0000C40B
	ds_write_b32 v11, v197 offset:14112                        // 00000000553C: D81A3720 0000C50B
	ds_write_b32 v11, v198 offset:13184                        // 000000005544: D81A3380 0000C60B
	ds_write_b32 v11, v199 offset:14240                        // 00000000554C: D81A37A0 0000C70B
	s_waitcnt lgkmcnt(0)                                       // 000000005554: BF8CC07F
	s_barrier                                                  // 000000005558: BF8A0000
	ds_read_b128 a[128:131], v22                               // 00000000555C: DBFE0000 80000016
	ds_read_b128 a[132:135], v22 offset:512                    // 000000005564: DBFE0200 84000016
	ds_read_b128 a[136:139], v22 offset:2176                   // 00000000556C: DBFE0880 88000016
	ds_read_b128 a[140:143], v22 offset:2688                   // 000000005574: DBFE0A80 8C000016
	s_waitcnt vmcnt(8) lgkmcnt(0)                              // 00000000557C: BF8C0078
	s_barrier                                                  // 000000005580: BF8A0000
	buffer_load_dword v9, s[24:27], 0 idxen lds                // 000000005584: E0512000 80060009
	s_mov_b32 m0, s75                                          // 00000000558C: BEFC004B
	v_add_u32_e32 v9, s69, v9                                  // 000000005590: 68121245
	v_perm_b32 v84, v33, v32, s63                              // 000000005594: D1ED0054 00FE4121
	v_perm_b32 v85, v33, v32, s64                              // 00000000559C: D1ED0055 01024121
	v_perm_b32 v86, v35, v34, s63                              // 0000000055A4: D1ED0056 00FE4523
	v_perm_b32 v87, v35, v34, s64                              // 0000000055AC: D1ED0057 01024523
	ds_write_b32 v13, v84 offset:4352                          // 0000000055B4: D81A1100 0000540D
	ds_write_b32 v13, v85 offset:5408                          // 0000000055BC: D81A1520 0000550D
	ds_write_b32 v13, v86 offset:4480                          // 0000000055C4: D81A1180 0000560D
	ds_write_b32 v13, v87 offset:5536                          // 0000000055CC: D81A15A0 0000570D
	ds_write_b32 v11, v32                                      // 0000000055D4: D81A0000 0000200B
	ds_write_b32 v11, v33 offset:1056                          // 0000000055DC: D81A0420 0000210B
	ds_write_b32 v11, v34 offset:128                           // 0000000055E4: D81A0080 0000220B
	ds_write_b32 v11, v35 offset:1184                          // 0000000055EC: D81A04A0 0000230B
	buffer_load_dword v9, s[24:27], 0 idxen lds                // 0000000055F4: E0512000 80060009
	s_mov_b32 m0, s74                                          // 0000000055FC: BEFC004A
	v_add_u32_e32 v9, s69, v9                                  // 000000005600: 68121245
	v_perm_b32 v88, v41, v40, s63                              // 000000005604: D1ED0058 00FE5129
	v_perm_b32 v89, v41, v40, s64                              // 00000000560C: D1ED0059 01025129
	v_perm_b32 v90, v43, v42, s63                              // 000000005614: D1ED005A 00FE552B
	v_perm_b32 v91, v43, v42, s64                              // 00000000561C: D1ED005B 0102552B
	ds_write_b32 v13, v88 offset:13056                         // 000000005624: D81A3300 0000580D
	ds_write_b32 v13, v89 offset:14112                         // 00000000562C: D81A3720 0000590D
	ds_write_b32 v13, v90 offset:13184                         // 000000005634: D81A3380 00005A0D
	ds_write_b32 v13, v91 offset:14240                         // 00000000563C: D81A37A0 00005B0D
	ds_write_b32 v11, v40 offset:8704                          // 000000005644: D81A2200 0000280B
	ds_write_b32 v11, v41 offset:9760                          // 00000000564C: D81A2620 0000290B
	ds_write_b32 v11, v42 offset:8832                          // 000000005654: D81A2280 00002A0B
	ds_write_b32 v11, v43 offset:9888                          // 00000000565C: D81A26A0 00002B0B
	s_waitcnt vmcnt(1) lgkmcnt(0)                              // 000000005664: BF8C0071
	s_barrier                                                  // 000000005668: BF8A0000
	ds_read_b128 a[144:147], v10                               // 00000000566C: DBFE0000 9000000A
	ds_read_b128 a[148:151], v10 offset:512                    // 000000005674: DBFE0200 9400000A
	ds_read_b128 a[152:155], v10 offset:2176                   // 00000000567C: DBFE0880 9800000A
	ds_read_b128 a[156:159], v10 offset:2688                   // 000000005684: DBFE0A80 9C00000A
	ds_read_b128 v[92:95], v10 offset:8704                     // 00000000568C: D9FE2200 5C00000A
	ds_read_b128 v[96:99], v10 offset:9216                     // 000000005694: D9FE2400 6000000A
	ds_read_b128 v[100:103], v10 offset:10880                  // 00000000569C: D9FE2A80 6400000A
	ds_read_b128 v[104:107], v10 offset:11392                  // 0000000056A4: D9FE2C80 6800000A
	ds_read_b32 v124, v21 offset:50688                         // 0000000056AC: D86CC600 7C000015
	ds_read_b32 v150, v21 offset:50944                         // 0000000056B4: D86CC700 96000015
	v_accvgpr_write_b32 a160, 0                                // 0000000056BC: D3D940A0 18000080
	v_mov_b32_e32 v152, 0                                      // 0000000056C4: 7F300280
	v_accvgpr_write_b32 a161, 0                                // 0000000056C8: D3D940A1 18000080
	v_mov_b32_e32 v153, 0                                      // 0000000056D0: 7F320280
	v_accvgpr_write_b32 a162, 0                                // 0000000056D4: D3D940A2 18000080
	v_mov_b32_e32 v154, 0                                      // 0000000056DC: 7F340280
	v_accvgpr_write_b32 a163, 0                                // 0000000056E0: D3D940A3 18000080
	v_mov_b32_e32 v155, 0                                      // 0000000056E8: 7F360280
	v_accvgpr_write_b32 a164, 0                                // 0000000056EC: D3D940A4 18000080
	v_mov_b32_e32 v156, 0                                      // 0000000056F4: 7F380280
	v_accvgpr_write_b32 a165, 0                                // 0000000056F8: D3D940A5 18000080
	v_mov_b32_e32 v157, 0                                      // 000000005700: 7F3A0280
	v_accvgpr_write_b32 a166, 0                                // 000000005704: D3D940A6 18000080
	v_mov_b32_e32 v158, 0                                      // 00000000570C: 7F3C0280
	v_accvgpr_write_b32 a167, 0                                // 000000005710: D3D940A7 18000080
	v_mov_b32_e32 v159, 0                                      // 000000005718: 7F3E0280
	v_accvgpr_write_b32 a168, 0                                // 00000000571C: D3D940A8 18000080
	v_mov_b32_e32 v160, 0                                      // 000000005724: 7F400280
	v_accvgpr_write_b32 a169, 0                                // 000000005728: D3D940A9 18000080
	v_mov_b32_e32 v161, 0                                      // 000000005730: 7F420280
	v_accvgpr_write_b32 a170, 0                                // 000000005734: D3D940AA 18000080
	v_mov_b32_e32 v162, 0                                      // 00000000573C: 7F440280
	v_accvgpr_write_b32 a171, 0                                // 000000005740: D3D940AB 18000080
	v_mov_b32_e32 v163, 0                                      // 000000005748: 7F460280
	v_accvgpr_write_b32 a172, 0                                // 00000000574C: D3D940AC 18000080
	v_mov_b32_e32 v164, 0                                      // 000000005754: 7F480280
	v_accvgpr_write_b32 a173, 0                                // 000000005758: D3D940AD 18000080
	v_mov_b32_e32 v165, 0                                      // 000000005760: 7F4A0280
	v_accvgpr_write_b32 a174, 0                                // 000000005764: D3D940AE 18000080
	v_mov_b32_e32 v166, 0                                      // 00000000576C: 7F4C0280
	v_accvgpr_write_b32 a175, 0                                // 000000005770: D3D940AF 18000080
	v_mov_b32_e32 v167, 0                                      // 000000005778: 7F4E0280
	v_accvgpr_write_b32 a176, 0                                // 00000000577C: D3D940B0 18000080
	v_mov_b32_e32 v168, 0                                      // 000000005784: 7F500280
	v_accvgpr_write_b32 a177, 0                                // 000000005788: D3D940B1 18000080
	v_mov_b32_e32 v169, 0                                      // 000000005790: 7F520280
	v_accvgpr_write_b32 a178, 0                                // 000000005794: D3D940B2 18000080
	v_mov_b32_e32 v170, 0                                      // 00000000579C: 7F540280
	v_accvgpr_write_b32 a179, 0                                // 0000000057A0: D3D940B3 18000080
	v_mov_b32_e32 v171, 0                                      // 0000000057A8: 7F560280
	v_accvgpr_write_b32 a180, 0                                // 0000000057AC: D3D940B4 18000080
	v_mov_b32_e32 v172, 0                                      // 0000000057B4: 7F580280
	v_accvgpr_write_b32 a181, 0                                // 0000000057B8: D3D940B5 18000080
	v_mov_b32_e32 v173, 0                                      // 0000000057C0: 7F5A0280
	v_accvgpr_write_b32 a182, 0                                // 0000000057C4: D3D940B6 18000080
	v_mov_b32_e32 v174, 0                                      // 0000000057CC: 7F5C0280
	v_accvgpr_write_b32 a183, 0                                // 0000000057D0: D3D940B7 18000080
	v_mov_b32_e32 v175, 0                                      // 0000000057D8: 7F5E0280
	v_accvgpr_write_b32 a184, 0                                // 0000000057DC: D3D940B8 18000080
	v_mov_b32_e32 v176, 0                                      // 0000000057E4: 7F600280
	v_accvgpr_write_b32 a185, 0                                // 0000000057E8: D3D940B9 18000080
	v_mov_b32_e32 v177, 0                                      // 0000000057F0: 7F620280
	v_accvgpr_write_b32 a186, 0                                // 0000000057F4: D3D940BA 18000080
	v_mov_b32_e32 v178, 0                                      // 0000000057FC: 7F640280
	v_accvgpr_write_b32 a187, 0                                // 000000005800: D3D940BB 18000080
	v_mov_b32_e32 v179, 0                                      // 000000005808: 7F660280
	v_accvgpr_write_b32 a188, 0                                // 00000000580C: D3D940BC 18000080
	v_mov_b32_e32 v180, 0                                      // 000000005814: 7F680280
	v_accvgpr_write_b32 a189, 0                                // 000000005818: D3D940BD 18000080
	v_mov_b32_e32 v181, 0                                      // 000000005820: 7F6A0280
	v_accvgpr_write_b32 a190, 0                                // 000000005824: D3D940BE 18000080
	v_mov_b32_e32 v182, 0                                      // 00000000582C: 7F6C0280
	v_accvgpr_write_b32 a191, 0                                // 000000005830: D3D940BF 18000080
	v_mov_b32_e32 v183, 0                                      // 000000005838: 7F6E0280
	v_accvgpr_write_b32 a192, 0                                // 00000000583C: D3D940C0 18000080
	v_mov_b32_e32 v184, 0                                      // 000000005844: 7F700280
	v_accvgpr_write_b32 a193, 0                                // 000000005848: D3D940C1 18000080
	v_mov_b32_e32 v185, 0                                      // 000000005850: 7F720280
	v_accvgpr_write_b32 a194, 0                                // 000000005854: D3D940C2 18000080
	v_mov_b32_e32 v186, 0                                      // 00000000585C: 7F740280
	v_accvgpr_write_b32 a195, 0                                // 000000005860: D3D940C3 18000080
	v_mov_b32_e32 v187, 0                                      // 000000005868: 7F760280
	v_accvgpr_write_b32 a196, 0                                // 00000000586C: D3D940C4 18000080
	v_mov_b32_e32 v188, 0                                      // 000000005874: 7F780280
	v_accvgpr_write_b32 a197, 0                                // 000000005878: D3D940C5 18000080
	v_mov_b32_e32 v189, 0                                      // 000000005880: 7F7A0280
	v_accvgpr_write_b32 a198, 0                                // 000000005884: D3D940C6 18000080
	v_mov_b32_e32 v190, 0                                      // 00000000588C: 7F7C0280
	v_accvgpr_write_b32 a199, 0                                // 000000005890: D3D940C7 18000080
	v_mov_b32_e32 v191, 0                                      // 000000005898: 7F7E0280
	v_accvgpr_write_b32 a200, 0                                // 00000000589C: D3D940C8 18000080
	v_mov_b32_e32 v192, 0                                      // 0000000058A4: 7F800280
	v_accvgpr_write_b32 a201, 0                                // 0000000058A8: D3D940C9 18000080
	v_mov_b32_e32 v193, 0                                      // 0000000058B0: 7F820280
	v_accvgpr_write_b32 a202, 0                                // 0000000058B4: D3D940CA 18000080
	v_mov_b32_e32 v194, 0                                      // 0000000058BC: 7F840280
	v_accvgpr_write_b32 a203, 0                                // 0000000058C0: D3D940CB 18000080
	v_mov_b32_e32 v195, 0                                      // 0000000058C8: 7F860280
	v_accvgpr_write_b32 a204, 0                                // 0000000058CC: D3D940CC 18000080
	v_mov_b32_e32 v196, 0                                      // 0000000058D4: 7F880280
	v_accvgpr_write_b32 a205, 0                                // 0000000058D8: D3D940CD 18000080
	v_mov_b32_e32 v197, 0                                      // 0000000058E0: 7F8A0280
	v_accvgpr_write_b32 a206, 0                                // 0000000058E4: D3D940CE 18000080
	v_mov_b32_e32 v198, 0                                      // 0000000058EC: 7F8C0280
	v_accvgpr_write_b32 a207, 0                                // 0000000058F0: D3D940CF 18000080
	v_mov_b32_e32 v199, 0                                      // 0000000058F8: 7F8E0280
	v_accvgpr_write_b32 a208, 0                                // 0000000058FC: D3D940D0 18000080
	v_mov_b32_e32 v200, 0                                      // 000000005904: 7F900280
	v_accvgpr_write_b32 a209, 0                                // 000000005908: D3D940D1 18000080
	v_mov_b32_e32 v201, 0                                      // 000000005910: 7F920280
	v_accvgpr_write_b32 a210, 0                                // 000000005914: D3D940D2 18000080
	v_mov_b32_e32 v202, 0                                      // 00000000591C: 7F940280
	v_accvgpr_write_b32 a211, 0                                // 000000005920: D3D940D3 18000080
	v_mov_b32_e32 v203, 0                                      // 000000005928: 7F960280
	v_accvgpr_write_b32 a212, 0                                // 00000000592C: D3D940D4 18000080
	v_mov_b32_e32 v204, 0                                      // 000000005934: 7F980280
	v_accvgpr_write_b32 a213, 0                                // 000000005938: D3D940D5 18000080
	v_mov_b32_e32 v205, 0                                      // 000000005940: 7F9A0280
	v_accvgpr_write_b32 a214, 0                                // 000000005944: D3D940D6 18000080
	v_mov_b32_e32 v206, 0                                      // 00000000594C: 7F9C0280
	v_accvgpr_write_b32 a215, 0                                // 000000005950: D3D940D7 18000080
	v_mov_b32_e32 v207, 0                                      // 000000005958: 7F9E0280
	v_accvgpr_write_b32 a216, 0                                // 00000000595C: D3D940D8 18000080
	v_mov_b32_e32 v208, 0                                      // 000000005964: 7FA00280
	v_accvgpr_write_b32 a217, 0                                // 000000005968: D3D940D9 18000080
	v_mov_b32_e32 v209, 0                                      // 000000005970: 7FA20280
	v_accvgpr_write_b32 a218, 0                                // 000000005974: D3D940DA 18000080
	v_mov_b32_e32 v210, 0                                      // 00000000597C: 7FA40280
	v_accvgpr_write_b32 a219, 0                                // 000000005980: D3D940DB 18000080
	v_mov_b32_e32 v211, 0                                      // 000000005988: 7FA60280
	v_accvgpr_write_b32 a220, 0                                // 00000000598C: D3D940DC 18000080
	v_mov_b32_e32 v212, 0                                      // 000000005994: 7FA80280
	v_accvgpr_write_b32 a221, 0                                // 000000005998: D3D940DD 18000080
	v_mov_b32_e32 v213, 0                                      // 0000000059A0: 7FAA0280
	v_accvgpr_write_b32 a222, 0                                // 0000000059A4: D3D940DE 18000080
	v_mov_b32_e32 v214, 0                                      // 0000000059AC: 7FAC0280
	v_accvgpr_write_b32 a223, 0                                // 0000000059B0: D3D940DF 18000080
	v_mov_b32_e32 v215, 0                                      // 0000000059B8: 7FAE0280
	v_accvgpr_write_b32 a224, 0                                // 0000000059BC: D3D940E0 18000080
	v_mov_b32_e32 v216, 0                                      // 0000000059C4: 7FB00280
	v_accvgpr_write_b32 a225, 0                                // 0000000059C8: D3D940E1 18000080
	v_mov_b32_e32 v217, 0                                      // 0000000059D0: 7FB20280
	v_accvgpr_write_b32 a226, 0                                // 0000000059D4: D3D940E2 18000080
	v_mov_b32_e32 v218, 0                                      // 0000000059DC: 7FB40280
	v_accvgpr_write_b32 a227, 0                                // 0000000059E0: D3D940E3 18000080
	v_mov_b32_e32 v219, 0                                      // 0000000059E8: 7FB60280
	v_accvgpr_write_b32 a228, 0                                // 0000000059EC: D3D940E4 18000080
	v_mov_b32_e32 v220, 0                                      // 0000000059F4: 7FB80280
	v_accvgpr_write_b32 a229, 0                                // 0000000059F8: D3D940E5 18000080
	v_mov_b32_e32 v221, 0                                      // 000000005A00: 7FBA0280
	v_accvgpr_write_b32 a230, 0                                // 000000005A04: D3D940E6 18000080
	v_mov_b32_e32 v222, 0                                      // 000000005A0C: 7FBC0280
	v_accvgpr_write_b32 a231, 0                                // 000000005A10: D3D940E7 18000080
	v_mov_b32_e32 v223, 0                                      // 000000005A18: 7FBE0280
	v_accvgpr_write_b32 a232, 0                                // 000000005A1C: D3D940E8 18000080
	v_mov_b32_e32 v224, 0                                      // 000000005A24: 7FC00280
	v_accvgpr_write_b32 a233, 0                                // 000000005A28: D3D940E9 18000080
	v_mov_b32_e32 v225, 0                                      // 000000005A30: 7FC20280
	v_accvgpr_write_b32 a234, 0                                // 000000005A34: D3D940EA 18000080
	v_mov_b32_e32 v226, 0                                      // 000000005A3C: 7FC40280
	v_accvgpr_write_b32 a235, 0                                // 000000005A40: D3D940EB 18000080
	v_mov_b32_e32 v227, 0                                      // 000000005A48: 7FC60280
	v_accvgpr_write_b32 a236, 0                                // 000000005A4C: D3D940EC 18000080
	v_mov_b32_e32 v228, 0                                      // 000000005A54: 7FC80280
	v_accvgpr_write_b32 a237, 0                                // 000000005A58: D3D940ED 18000080
	v_mov_b32_e32 v229, 0                                      // 000000005A60: 7FCA0280
	v_accvgpr_write_b32 a238, 0                                // 000000005A64: D3D940EE 18000080
	v_mov_b32_e32 v230, 0                                      // 000000005A6C: 7FCC0280
	v_accvgpr_write_b32 a239, 0                                // 000000005A70: D3D940EF 18000080
	v_mov_b32_e32 v231, 0                                      // 000000005A78: 7FCE0280
	v_accvgpr_write_b32 a240, 0                                // 000000005A7C: D3D940F0 18000080
	v_mov_b32_e32 v232, 0                                      // 000000005A84: 7FD00280
	v_accvgpr_write_b32 a241, 0                                // 000000005A88: D3D940F1 18000080
	v_mov_b32_e32 v233, 0                                      // 000000005A90: 7FD20280
	v_accvgpr_write_b32 a242, 0                                // 000000005A94: D3D940F2 18000080
	v_mov_b32_e32 v234, 0                                      // 000000005A9C: 7FD40280
	v_accvgpr_write_b32 a243, 0                                // 000000005AA0: D3D940F3 18000080
	v_mov_b32_e32 v235, 0                                      // 000000005AA8: 7FD60280
	v_accvgpr_write_b32 a244, 0                                // 000000005AAC: D3D940F4 18000080
	v_mov_b32_e32 v236, 0                                      // 000000005AB4: 7FD80280
	v_accvgpr_write_b32 a245, 0                                // 000000005AB8: D3D940F5 18000080
	v_mov_b32_e32 v237, 0                                      // 000000005AC0: 7FDA0280
	v_accvgpr_write_b32 a246, 0                                // 000000005AC4: D3D940F6 18000080
	v_mov_b32_e32 v238, 0                                      // 000000005ACC: 7FDC0280
	v_accvgpr_write_b32 a247, 0                                // 000000005AD0: D3D940F7 18000080
	v_mov_b32_e32 v239, 0                                      // 000000005AD8: 7FDE0280
	v_accvgpr_write_b32 a248, 0                                // 000000005ADC: D3D940F8 18000080
	v_mov_b32_e32 v240, 0                                      // 000000005AE4: 7FE00280
	v_accvgpr_write_b32 a249, 0                                // 000000005AE8: D3D940F9 18000080
	v_mov_b32_e32 v241, 0                                      // 000000005AF0: 7FE20280
	v_accvgpr_write_b32 a250, 0                                // 000000005AF4: D3D940FA 18000080
	v_mov_b32_e32 v242, 0                                      // 000000005AFC: 7FE40280
	v_accvgpr_write_b32 a251, 0                                // 000000005B00: D3D940FB 18000080
	v_mov_b32_e32 v243, 0                                      // 000000005B08: 7FE60280
	v_accvgpr_write_b32 a252, 0                                // 000000005B0C: D3D940FC 18000080
	v_mov_b32_e32 v244, 0                                      // 000000005B14: 7FE80280
	v_accvgpr_write_b32 a253, 0                                // 000000005B18: D3D940FD 18000080
	v_mov_b32_e32 v245, 0                                      // 000000005B20: 7FEA0280
	v_accvgpr_write_b32 a254, 0                                // 000000005B24: D3D940FE 18000080
	v_mov_b32_e32 v246, 0                                      // 000000005B2C: 7FEC0280
	v_accvgpr_write_b32 a255, 0                                // 000000005B30: D3D940FF 18000080
	v_mov_b32_e32 v247, 0                                      // 000000005B38: 7FEE0280
	v_mov_b32_e32 v136, 0                                      // 000000005B3C: 7F100280
	v_mov_b32_e32 v137, 0                                      // 000000005B40: 7F120280
	v_mov_b32_e32 v138, 0                                      // 000000005B44: 7F140280
	v_mov_b32_e32 v139, 0                                      // 000000005B48: 7F160280
	v_mov_b32_e32 v140, 0                                      // 000000005B4C: 7F180280
	v_mov_b32_e32 v141, 0                                      // 000000005B50: 7F1A0280
	v_mov_b32_e32 v142, 0                                      // 000000005B54: 7F1C0280
	v_mov_b32_e32 v143, 0                                      // 000000005B58: 7F1E0280
	v_mov_b32_e32 v128, 0                                      // 000000005B5C: 7F000280
	v_mov_b32_e32 v129, 0                                      // 000000005B60: 7F020280
	v_mov_b32_e32 v130, 0                                      // 000000005B64: 7F040280
	v_mov_b32_e32 v131, 0                                      // 000000005B68: 7F060280
	v_mov_b32_e32 v132, 0                                      // 000000005B6C: 7F080280
	v_mov_b32_e32 v133, 0                                      // 000000005B70: 7F0A0280
	v_mov_b32_e32 v134, 0                                      // 000000005B74: 7F0C0280
	v_mov_b32_e32 v135, 0                                      // 000000005B78: 7F0E0280
	s_waitcnt lgkmcnt(0)                                       // 000000005B7C: BF8CC07F
	s_barrier                                                  // 000000005B80: BF8A0000
	buffer_load_dword v32, v1, s[8:11], 0 idxen                // 000000005B84: E0502000 80022001
	buffer_load_dword v33, v2, s[8:11], 0 idxen                // 000000005B8C: E0502000 80022102
	buffer_load_dword v34, v3, s[8:11], 0 idxen                // 000000005B94: E0502000 80022203
	buffer_load_dword v35, v4, s[8:11], 0 idxen                // 000000005B9C: E0502000 80022304
	buffer_load_dword v40, v1, s[20:23], 0 idxen               // 000000005BA4: E0502000 80052801
	buffer_load_dword v41, v2, s[20:23], 0 idxen               // 000000005BAC: E0502000 80052902
	buffer_load_dword v42, v3, s[20:23], 0 idxen               // 000000005BB4: E0502000 80052A03
	buffer_load_dword v43, v4, s[20:23], 0 idxen               // 000000005BBC: E0502000 80052B04
	buffer_load_dword v9, s[24:27], 0 idxen lds                // 000000005BC4: E0512000 80060009
	s_mov_b32 m0, s75                                          // 000000005BCC: BEFC004B
	v_add_u32_e32 v9, s69, v9                                  // 000000005BD0: 68121245
	s_add_u32 s8, s68, s8                                      // 000000005BD4: 80080844
	s_addc_u32 s9, 0, s9                                       // 000000005BD8: 82090980
	s_add_u32 s20, s68, s20                                    // 000000005BDC: 80141444
	s_addc_u32 s21, 0, s21                                     // 000000005BE0: 82151580
	v_mul_f32_e32 v124, s49, v124                              // 000000005BE4: 0AF8F831
	v_perm_b32 v84, v37, v36, s63                              // 000000005BE8: D1ED0054 00FE4925
	v_perm_b32 v85, v37, v36, s64                              // 000000005BF0: D1ED0055 01024925
	v_perm_b32 v86, v39, v38, s63                              // 000000005BF8: D1ED0056 00FE4D27
	v_perm_b32 v87, v39, v38, s64                              // 000000005C00: D1ED0057 01024D27
	v_perm_b32 v88, v45, v44, s63                              // 000000005C08: D1ED0058 00FE592D
	v_perm_b32 v89, v45, v44, s64                              // 000000005C10: D1ED0059 0102592D
	v_perm_b32 v90, v47, v46, s63                              // 000000005C18: D1ED005A 00FE5D2F
	v_perm_b32 v91, v47, v46, s64                              // 000000005C20: D1ED005B 01025D2F
	v_mov_b32_dpp v127, v124 quad_perm:[3,3,3,3] row_mask:0xf bank_mask:0xf// 000000005C28: 7EFE02FA FF00FF7C
	v_mov_b32_dpp v126, v124 quad_perm:[2,2,2,2] row_mask:0xf bank_mask:0xf// 000000005C30: 7EFC02FA FF00AA7C
	v_mov_b32_dpp v125, v124 quad_perm:[1,1,1,1] row_mask:0xf bank_mask:0xf// 000000005C38: 7EFA02FA FF00557C
	v_mov_b32_dpp v124, v124 quad_perm:[0,0,0,0] row_mask:0xf bank_mask:0xf// 000000005C40: 7EF802FA FF00007C
	s_waitcnt vmcnt(9)                                         // 000000005C48: BF8C0F79
	s_barrier                                                  // 000000005C4C: BF8A0000
	s_cmp_lt_i32 s47, 2                                        // 000000005C50: BF04822F
	s_cbranch_scc0 label_0C2E                                  // 000000005C54: BF840498
	s_nop 0                                                    // 000000005C58: BF800000
	s_nop 0                                                    // 000000005C5C: BF800000

0000000000005c60 <label_0798>:
	s_waitcnt lgkmcnt(4)                                       // 000000005C60: BF8CC47F
	s_barrier                                                  // 000000005C64: BF8A0000
	v_mfma_f32_16x16x16_f16 v[48:51], a[144:145], a[0:1], 0    // 000000005C68: D3CD0030 1A020190
	ds_write_b32 v11, v44 offset:8704                          // 000000005C70: D81A2200 00002C0B
	ds_write_b32 v11, v45 offset:9760                          // 000000005C78: D81A2620 00002D0B
	v_mfma_f32_16x16x16_f16 v[48:51], a[146:147], a[2:3], v[48:51]// 000000005C80: D3CD0030 1CC20592
	v_mul_f32_e32 v128, s48, v128                              // 000000005C88: 0B010030
	v_mul_f32_e32 v129, s48, v129                              // 000000005C8C: 0B030230
	v_mfma_f32_16x16x16_f16 v[48:51], a[148:149], a[4:5], v[48:51]// 000000005C90: D3CD0030 1CC20994
	ds_write_b32 v11, v46 offset:8832                          // 000000005C98: D81A2280 00002E0B
	ds_write_b32 v11, v47 offset:9888                          // 000000005CA0: D81A26A0 00002F0B
	v_mfma_f32_16x16x16_f16 v[48:51], a[150:151], a[6:7], v[48:51]// 000000005CA8: D3CD0030 1CC20D96
	v_mul_f32_e32 v130, s48, v130                              // 000000005CB0: 0B050430
	v_mul_f32_e32 v131, s48, v131                              // 000000005CB4: 0B070630
	v_mfma_f32_16x16x16_f16 v[48:51], a[152:153], a[8:9], v[48:51]// 000000005CB8: D3CD0030 1CC21198
	ds_write_b64 v20, v[128:129] offset:24320                  // 000000005CC0: D89A5F00 00008014
	v_mfma_f32_16x16x16_f16 v[48:51], a[154:155], a[10:11], v[48:51]// 000000005CC8: D3CD0030 1CC2159A
	v_mul_f32_e32 v132, s48, v132                              // 000000005CD0: 0B090830
	v_mul_f32_e32 v133, s48, v133                              // 000000005CD4: 0B0B0A30
	v_mfma_f32_16x16x16_f16 v[48:51], a[156:157], a[12:13], v[48:51]// 000000005CD8: D3CD0030 1CC2199C
	ds_write_b64 v20, v[130:131] offset:24832                  // 000000005CE0: D89A6100 00008214
	v_mfma_f32_16x16x16_f16 v[48:51], a[158:159], a[14:15], v[48:51]// 000000005CE8: D3CD0030 1CC21D9E
	v_mul_f32_e32 v134, s48, v134                              // 000000005CF0: 0B0D0C30
	v_mul_f32_e32 v135, s48, v135                              // 000000005CF4: 0B0F0E30
	v_mfma_f32_16x16x16_f16 v[52:55], a[144:145], a[16:17], 0  // 000000005CF8: D3CD0034 1A022190
	ds_write_b64 v20, v[132:133] offset:25344                  // 000000005D00: D89A6300 00008414
	v_mfma_f32_16x16x16_f16 v[52:55], a[146:147], a[18:19], v[52:55]// 000000005D08: D3CD0034 1CD22592
	buffer_atomic_add_f32 v140, v7, s[32:35], 0 idxen offset:256// 000000005D10: E1342100 80088C07
	v_mfma_f32_16x16x16_f16 v[52:55], a[148:149], a[20:21], v[52:55]// 000000005D18: D3CD0034 1CD22994
	ds_write_b64 v20, v[134:135] offset:25856                  // 000000005D20: D89A6500 00008614
	v_mfma_f32_16x16x16_f16 v[52:55], a[150:151], a[22:23], v[52:55]// 000000005D28: D3CD0034 1CD22D96
	v_mfma_f32_16x16x16_f16 v[52:55], a[152:153], a[24:25], v[52:55]// 000000005D30: D3CD0034 1CD23198
	ds_read_b128 v[108:111], v12 offset:13056                  // 000000005D38: D9FE3300 6C00000C
	ds_write_b32 v11, v36                                      // 000000005D40: D81A0000 0000240B
	v_mfma_f32_16x16x16_f16 v[52:55], a[154:155], a[26:27], v[52:55]// 000000005D48: D3CD0034 1CD2359A
	buffer_atomic_add_f32 v141, v8, s[32:35], 0 idxen offset:256// 000000005D50: E1342100 80088D08
	v_mfma_f32_16x16x16_f16 v[52:55], a[156:157], a[28:29], v[52:55]// 000000005D58: D3CD0034 1CD2399C
	v_mfma_f32_16x16x16_f16 v[52:55], a[158:159], a[30:31], v[52:55]// 000000005D60: D3CD0034 1CD23D9E
	ds_read_b128 v[112:115], v12 offset:13568                  // 000000005D68: D9FE3500 7000000C
	ds_write_b32 v11, v37 offset:1056                          // 000000005D70: D81A0420 0000250B
	v_mfma_f32_16x16x16_f16 v[56:59], a[144:145], a[32:33], 0  // 000000005D78: D3CD0038 1A024190
	buffer_atomic_add_f32 v142, v7, s[32:35], 0 idxen offset:384// 000000005D80: E1342180 80088E07
	v_mfma_f32_16x16x16_f16 v[56:59], a[146:147], a[34:35], v[56:59]// 000000005D88: D3CD0038 1CE24592
	v_mfma_f32_16x16x16_f16 v[56:59], a[148:149], a[36:37], v[56:59]// 000000005D90: D3CD0038 1CE24994
	ds_read_b128 v[116:119], v12 offset:15232                  // 000000005D98: D9FE3B80 7400000C
	ds_write_b32 v11, v38 offset:128                           // 000000005DA0: D81A0080 0000260B
	v_mfma_f32_16x16x16_f16 v[56:59], a[150:151], a[38:39], v[56:59]// 000000005DA8: D3CD0038 1CE24D96
	v_mfma_f32_16x16x16_f16 v[56:59], a[152:153], a[40:41], v[56:59]// 000000005DB0: D3CD0038 1CE25198
	buffer_atomic_add_f32 v143, v8, s[32:35], 0 idxen offset:384// 000000005DB8: E1342180 80088F08
	v_mfma_f32_16x16x16_f16 v[56:59], a[154:155], a[42:43], v[56:59]// 000000005DC0: D3CD0038 1CE2559A
	ds_read_b128 v[120:123], v12 offset:15744                  // 000000005DC8: D9FE3D80 7800000C
	ds_write_b32 v11, v39 offset:1184                          // 000000005DD0: D81A04A0 0000270B
	v_mfma_f32_16x16x16_f16 v[56:59], a[156:157], a[44:45], v[56:59]// 000000005DD8: D3CD0038 1CE2599C
	v_mfma_f32_16x16x16_f16 v[56:59], a[158:159], a[46:47], v[56:59]// 000000005DE0: D3CD0038 1CE25D9E
	s_cmp_lt_i32 s73, 3                                        // 000000005DE8: BF048349
	s_cbranch_scc0 label_080B                                  // 000000005DEC: BF84000F
	s_cmp_eq_i32 s73, 1                                        // 000000005DF0: BF008149
	s_cbranch_scc1 label_0801                                  // 000000005DF4: BF850003
	s_cmp_eq_i32 s73, 2                                        // 000000005DF8: BF008249
	s_cbranch_scc1 label_0806                                  // 000000005DFC: BF850006
	s_branch label_080B                                        // 000000005E00: BF82000A

0000000000005e04 <label_0801>:
	v_mov_b32_e32 v52, v151                                    // 000000005E04: 7E680397
	v_mov_b32_e32 v53, v151                                    // 000000005E08: 7E6A0397
	v_mov_b32_e32 v54, v151                                    // 000000005E0C: 7E6C0397
	v_mov_b32_e32 v55, v151                                    // 000000005E10: 7E6E0397
	s_branch label_0806                                        // 000000005E14: BF820000

0000000000005e18 <label_0806>:
	v_mov_b32_e32 v56, v151                                    // 000000005E18: 7E700397
	v_mov_b32_e32 v57, v151                                    // 000000005E1C: 7E720397
	v_mov_b32_e32 v58, v151                                    // 000000005E20: 7E740397
	v_mov_b32_e32 v59, v151                                    // 000000005E24: 7E760397
	s_branch label_080B                                        // 000000005E28: BF820000

0000000000005e2c <label_080B>:
	s_waitcnt lgkmcnt(8)                                       // 000000005E2C: BF8CC87F
	s_barrier                                                  // 000000005E30: BF8A0000
	v_mfma_f32_16x16x16_f16 v[72:75], v[92:93], a[96:97], 0    // 000000005E34: D3CD0048 1202C15C
	ds_read_b128 a[144:147], v12 offset:4352                   // 000000005E3C: DBFE1100 9000000C
	ds_read_b128 a[148:151], v12 offset:4864                   // 000000005E44: DBFE1300 9400000C
	v_mfma_f32_16x16x16_f16 v[72:75], v[94:95], a[98:99], v[72:75]// 000000005E4C: D3CD0048 1522C55E
	v_fma_f32 v48, v48, s57, -v124                             // 000000005E54: D1CB0030 85F07330
	v_fma_f32 v49, v49, s57, -v125                             // 000000005E5C: D1CB0031 85F47331
	v_fma_f32 v50, v50, s57, -v126                             // 000000005E64: D1CB0032 85F87332
	v_mfma_f32_16x16x16_f16 v[72:75], v[96:97], a[100:101], v[72:75]// 000000005E6C: D3CD0048 1522C960
	v_fma_f32 v51, v51, s57, -v127                             // 000000005E74: D1CB0033 85FC7333
	v_fma_f32 v52, v52, s57, -v124                             // 000000005E7C: D1CB0034 85F07334
	v_fma_f32 v53, v53, s57, -v125                             // 000000005E84: D1CB0035 85F47335
	v_mfma_f32_16x16x16_f16 v[72:75], v[98:99], a[102:103], v[72:75]// 000000005E8C: D3CD0048 1522CD62
	v_fma_f32 v54, v54, s57, -v126                             // 000000005E94: D1CB0036 85F87336
	v_fma_f32 v55, v55, s57, -v127                             // 000000005E9C: D1CB0037 85FC7337
	v_fma_f32 v56, v56, s57, -v124                             // 000000005EA4: D1CB0038 85F07338
	v_mfma_f32_16x16x16_f16 v[72:75], v[100:101], a[104:105], v[72:75]// 000000005EAC: D3CD0048 1522D164
	ds_read_b128 a[152:155], v12 offset:6528                   // 000000005EB4: DBFE1980 9800000C
	ds_read_b128 a[156:159], v12 offset:7040                   // 000000005EBC: DBFE1B80 9C00000C
	v_mfma_f32_16x16x16_f16 v[72:75], v[102:103], a[106:107], v[72:75]// 000000005EC4: D3CD0048 1522D566
	v_fma_f32 v57, v57, s57, -v125                             // 000000005ECC: D1CB0039 85F47339
	v_fma_f32 v58, v58, s57, -v126                             // 000000005ED4: D1CB003A 85F8733A
	v_fma_f32 v59, v59, s57, -v127                             // 000000005EDC: D1CB003B 85FC733B
	v_mfma_f32_16x16x16_f16 v[72:75], v[104:105], a[108:109], v[72:75]// 000000005EE4: D3CD0048 1522D968
	v_exp_f32_e32 v48, v48                                     // 000000005EEC: 7E604130
	v_mfma_f32_16x16x16_f16 v[72:75], v[106:107], a[110:111], v[72:75]// 000000005EF0: D3CD0048 1522DD6A
	v_exp_f32_e32 v49, v49                                     // 000000005EF8: 7E624131
	v_mfma_f32_16x16x16_f16 v[76:79], v[92:93], a[112:113], 0  // 000000005EFC: D3CD004C 1202E15C
	ds_read_b64 v[136:137], v19 offset:24320                   // 000000005F04: D8EC5F00 88000013
	ds_read_b64 v[138:139], v19 offset:26368                   // 000000005F0C: D8EC6700 8A000013
	v_mfma_f32_16x16x16_f16 v[76:79], v[94:95], a[114:115], v[76:79]// 000000005F14: D3CD004C 1532E55E
	v_exp_f32_e32 v50, v50                                     // 000000005F1C: 7E644132
	v_mfma_f32_16x16x16_f16 v[76:79], v[96:97], a[116:117], v[76:79]// 000000005F20: D3CD004C 1532E960
	ds_read_b64 v[140:141], v19 offset:28416                   // 000000005F28: D8EC6F00 8C000013
	ds_read_b64 v[142:143], v19 offset:30464                   // 000000005F30: D8EC7700 8E000013
	v_mfma_f32_16x16x16_f16 v[76:79], v[98:99], a[118:119], v[76:79]// 000000005F38: D3CD004C 1532ED62
	v_exp_f32_e32 v51, v51                                     // 000000005F40: 7E664133
	v_mfma_f32_16x16x16_f16 v[76:79], v[100:101], a[120:121], v[76:79]// 000000005F44: D3CD004C 1532F164
	v_exp_f32_e32 v52, v52                                     // 000000005F4C: 7E684134
	v_mfma_f32_16x16x16_f16 v[76:79], v[102:103], a[122:123], v[76:79]// 000000005F50: D3CD004C 1532F566
	v_exp_f32_e32 v53, v53                                     // 000000005F58: 7E6A4135
	v_mfma_f32_16x16x16_f16 v[76:79], v[104:105], a[124:125], v[76:79]// 000000005F5C: D3CD004C 1532F968
	v_exp_f32_e32 v54, v54                                     // 000000005F64: 7E6C4136
	v_mfma_f32_16x16x16_f16 v[76:79], v[106:107], a[126:127], v[76:79]// 000000005F68: D3CD004C 1532FD6A
	v_exp_f32_e32 v55, v55                                     // 000000005F70: 7E6E4137
	v_mfma_f32_16x16x16_f16 v[80:83], v[92:93], a[128:129], 0  // 000000005F74: D3CD0050 1203015C
	v_exp_f32_e32 v56, v56                                     // 000000005F7C: 7E704138
	v_mfma_f32_16x16x16_f16 v[80:83], v[94:95], a[130:131], v[80:83]// 000000005F80: D3CD0050 1543055E
	v_exp_f32_e32 v57, v57                                     // 000000005F88: 7E724139
	v_mfma_f32_16x16x16_f16 v[80:83], v[96:97], a[132:133], v[80:83]// 000000005F8C: D3CD0050 15430960
	v_exp_f32_e32 v58, v58                                     // 000000005F94: 7E74413A
	v_mfma_f32_16x16x16_f16 v[80:83], v[98:99], a[134:135], v[80:83]// 000000005F98: D3CD0050 15430D62
	v_exp_f32_e32 v59, v59                                     // 000000005FA0: 7E76413B
	v_mfma_f32_16x16x16_f16 v[80:83], v[100:101], a[136:137], v[80:83]// 000000005FA4: D3CD0050 15431164
	v_cvt_pkrtz_f16_f32 v144, v48, v49                         // 000000005FAC: D2960090 00026330
	v_cvt_pkrtz_f16_f32 v145, v50, v51                         // 000000005FB4: D2960091 00026732
	v_cvt_pkrtz_f16_f32 v146, v52, v53                         // 000000005FBC: D2960092 00026B34
	v_mfma_f32_16x16x16_f16 v[80:83], v[102:103], a[138:139], v[80:83]// 000000005FC4: D3CD0050 15431566
	v_cvt_pkrtz_f16_f32 v147, v54, v55                         // 000000005FCC: D2960093 00026F36
	v_cvt_pkrtz_f16_f32 v148, v56, v57                         // 000000005FD4: D2960094 00027338
	v_cvt_pkrtz_f16_f32 v149, v58, v59                         // 000000005FDC: D2960095 0002773A
	v_mfma_f32_16x16x16_f16 v[80:83], v[104:105], a[140:141], v[80:83]// 000000005FE4: D3CD0050 15431968
	s_add_u32 s32, s66, s32                                    // 000000005FEC: 80202042
	s_addc_u32 s33, 0, s33                                     // 000000005FF0: 82212180
	v_mfma_f32_16x16x16_f16 v[80:83], v[106:107], a[142:143], v[80:83]// 000000005FF4: D3CD0050 15431D6A
	s_waitcnt lgkmcnt(0)                                       // 000000005FFC: BF8CC07F
	s_barrier                                                  // 000000006000: BF8A0000
	v_mfma_f32_16x16x16_f16 v[152:155], v[108:109], v[144:145], v[152:155]// 000000006004: D3CD0098 0663216C
	v_subrev_f32_dpp v72, v150, v72 quad_perm:[0,0,0,0] row_mask:0xf bank_mask:0xf// 00000000600C: 069090FA FF000096
	v_subrev_f32_dpp v73, v150, v73 quad_perm:[1,1,1,1] row_mask:0xf bank_mask:0xf// 000000006014: 069292FA FF005596
	v_subrev_f32_dpp v74, v150, v74 quad_perm:[2,2,2,2] row_mask:0xf bank_mask:0xf// 00000000601C: 069494FA FF00AA96
	v_mfma_f32_16x16x16_f16 v[156:159], v[110:111], v[144:145], v[156:159]// 000000006024: D3CD009C 0673216E
	v_subrev_f32_dpp v75, v150, v75 quad_perm:[3,3,3,3] row_mask:0xf bank_mask:0xf// 00000000602C: 069696FA FF00FF96
	v_subrev_f32_dpp v76, v150, v76 quad_perm:[0,0,0,0] row_mask:0xf bank_mask:0xf// 000000006034: 069898FA FF000096
	v_subrev_f32_dpp v77, v150, v77 quad_perm:[1,1,1,1] row_mask:0xf bank_mask:0xf// 00000000603C: 069A9AFA FF005596
	v_mfma_f32_16x16x16_f16 v[160:163], v[112:113], v[144:145], v[160:163]// 000000006044: D3CD00A0 06832170
	v_mul_f32_e32 v72, v48, v72                                // 00000000604C: 0A909130
	v_mul_f32_e32 v73, v49, v73                                // 000000006050: 0A929331
	v_mul_f32_e32 v74, v50, v74                                // 000000006054: 0A949532
	v_mfma_f32_16x16x16_f16 v[164:167], v[114:115], v[144:145], v[164:167]// 000000006058: D3CD00A4 06932172
	v_mul_f32_e32 v75, v51, v75                                // 000000006060: 0A969733
	v_mul_f32_e32 v76, v52, v76                                // 000000006064: 0A989934
	v_mul_f32_e32 v77, v53, v77                                // 000000006068: 0A9A9B35
	v_mfma_f32_16x16x16_f16 v[168:171], v[116:117], v[144:145], v[168:171]// 00000000606C: D3CD00A8 06A32174
	v_cvt_pkrtz_f16_f32 v72, v72, v73                          // 000000006074: D2960048 00029348
	v_cvt_pkrtz_f16_f32 v73, v74, v75                          // 00000000607C: D2960049 0002974A
	v_cvt_pkrtz_f16_f32 v74, v76, v77                          // 000000006084: D296004A 00029B4C
	v_mfma_f32_16x16x16_f16 v[172:175], v[118:119], v[144:145], v[172:175]// 00000000608C: D3CD00AC 06B32176
	v_mov_b32_dpp v16, v72 quad_perm:[1,0,3,2] row_mask:0xf bank_mask:0xf// 000000006094: 7E2002FA FF00B148
	v_perm_b32 v48, v16, v72, v15                              // 00000000609C: D1ED0030 043E9110
	v_mov_b32_dpp v16, v73 quad_perm:[1,0,3,2] row_mask:0xf bank_mask:0xf// 0000000060A4: 7E2002FA FF00B149
	v_mfma_f32_16x16x16_f16 v[176:179], v[120:121], v[144:145], v[176:179]// 0000000060AC: D3CD00B0 06C32178
	v_perm_b32 v49, v16, v73, v15                              // 0000000060B4: D1ED0031 043E9310
	v_mov_b32_dpp v16, v74 quad_perm:[1,0,3,2] row_mask:0xf bank_mask:0xf// 0000000060BC: 7E2002FA FF00B14A
	v_perm_b32 v50, v16, v74, v15                              // 0000000060C4: D1ED0032 043E9510
	v_mfma_f32_16x16x16_f16 v[180:183], v[122:123], v[144:145], v[180:183]// 0000000060CC: D3CD00B4 06D3217A
	ds_write_b32 v18, v48 offset:17408                         // 0000000060D4: D81A4400 00003012
	v_mfma_f32_16x16x16_f16 v[184:187], v[108:109], v[146:147], v[184:187]// 0000000060DC: D3CD00B8 06E3256C
	v_subrev_f32_dpp v78, v150, v78 quad_perm:[2,2,2,2] row_mask:0xf bank_mask:0xf// 0000000060E4: 069C9CFA FF00AA96
	v_subrev_f32_dpp v79, v150, v79 quad_perm:[3,3,3,3] row_mask:0xf bank_mask:0xf// 0000000060EC: 069E9EFA FF00FF96
	v_subrev_f32_dpp v80, v150, v80 quad_perm:[0,0,0,0] row_mask:0xf bank_mask:0xf// 0000000060F4: 06A0A0FA FF000096
	v_mfma_f32_16x16x16_f16 v[188:191], v[110:111], v[146:147], v[188:191]// 0000000060FC: D3CD00BC 06F3256E
	ds_write_b32 v18, v49 offset:17952                         // 000000006104: D81A4620 00003112
	v_mfma_f32_16x16x16_f16 v[192:195], v[112:113], v[146:147], v[192:195]// 00000000610C: D3CD00C0 07032570
	v_subrev_f32_dpp v81, v150, v81 quad_perm:[1,1,1,1] row_mask:0xf bank_mask:0xf// 000000006114: 06A2A2FA FF005596
	v_subrev_f32_dpp v82, v150, v82 quad_perm:[2,2,2,2] row_mask:0xf bank_mask:0xf// 00000000611C: 06A4A4FA FF00AA96
	v_subrev_f32_dpp v83, v150, v83 quad_perm:[3,3,3,3] row_mask:0xf bank_mask:0xf// 000000006124: 06A6A6FA FF00FF96
	v_mfma_f32_16x16x16_f16 v[196:199], v[114:115], v[146:147], v[196:199]// 00000000612C: D3CD00C4 07132572
	ds_write_b32 v18, v50 offset:19712                         // 000000006134: D81A4D00 00003212
	v_mfma_f32_16x16x16_f16 v[200:203], v[116:117], v[146:147], v[200:203]// 00000000613C: D3CD00C8 07232574
	v_mul_f32_e32 v78, v54, v78                                // 000000006144: 0A9C9D36
	v_mul_f32_e32 v79, v55, v79                                // 000000006148: 0A9E9F37
	v_mul_f32_e32 v80, v56, v80                                // 00000000614C: 0AA0A138
	v_mfma_f32_16x16x16_f16 v[204:207], v[118:119], v[146:147], v[204:207]// 000000006150: D3CD00CC 07332576
	v_mul_f32_e32 v81, v57, v81                                // 000000006158: 0AA2A339
	v_mul_f32_e32 v82, v58, v82                                // 00000000615C: 0AA4A53A
	v_mul_f32_e32 v83, v59, v83                                // 000000006160: 0AA6A73B
	v_mfma_f32_16x16x16_f16 v[208:211], v[120:121], v[146:147], v[208:211]// 000000006164: D3CD00D0 07432578
	v_cvt_pkrtz_f16_f32 v75, v78, v79                          // 00000000616C: D296004B 00029F4E
	v_cvt_pkrtz_f16_f32 v76, v80, v81                          // 000000006174: D296004C 0002A350
	v_cvt_pkrtz_f16_f32 v77, v82, v83                          // 00000000617C: D296004D 0002A752
	v_mfma_f32_16x16x16_f16 v[212:215], v[122:123], v[146:147], v[212:215]// 000000006184: D3CD00D4 0753257A
	v_mov_b32_dpp v16, v75 quad_perm:[1,0,3,2] row_mask:0xf bank_mask:0xf// 00000000618C: 7E2002FA FF00B14B
	v_perm_b32 v51, v16, v75, v15                              // 000000006194: D1ED0033 043E9710
	v_mov_b32_dpp v16, v76 quad_perm:[1,0,3,2] row_mask:0xf bank_mask:0xf// 00000000619C: 7E2002FA FF00B14C
	v_mfma_f32_16x16x16_f16 v[216:219], v[108:109], v[148:149], v[216:219]// 0000000061A4: D3CD00D8 0763296C
	v_perm_b32 v52, v16, v76, v15                              // 0000000061AC: D1ED0034 043E9910
	v_mov_b32_dpp v16, v77 quad_perm:[1,0,3,2] row_mask:0xf bank_mask:0xf// 0000000061B4: 7E2002FA FF00B14D
	v_perm_b32 v53, v16, v77, v15                              // 0000000061BC: D1ED0035 043E9B10
	v_mfma_f32_16x16x16_f16 v[220:223], v[110:111], v[148:149], v[220:223]// 0000000061C4: D3CD00DC 0773296E
	ds_write_b32 v18, v51 offset:20256                         // 0000000061CC: D81A4F20 00003312
	v_mfma_f32_16x16x16_f16 v[224:227], v[112:113], v[148:149], v[224:227]// 0000000061D4: D3CD00E0 07832970
	v_mfma_f32_16x16x16_f16 v[228:231], v[114:115], v[148:149], v[228:231]// 0000000061DC: D3CD00E4 07932972
	ds_write_b32 v18, v52 offset:22016                         // 0000000061E4: D81A5600 00003412
	ds_write_b32 v18, v53 offset:22560                         // 0000000061EC: D81A5820 00003512
	v_mfma_f32_16x16x16_f16 v[232:235], v[116:117], v[148:149], v[232:235]// 0000000061F4: D3CD00E8 07A32974
	v_mfma_f32_16x16x16_f16 v[236:239], v[118:119], v[148:149], v[236:239]// 0000000061FC: D3CD00EC 07B32976
	ds_write_b32 v13, v84 offset:4352                          // 000000006204: D81A1100 0000540D
	ds_write_b32 v13, v85 offset:5408                          // 00000000620C: D81A1520 0000550D
	v_mfma_f32_16x16x16_f16 v[240:243], v[120:121], v[148:149], v[240:243]// 000000006214: D3CD00F0 07C32978
	s_nop 0                                                    // 00000000621C: BF800000
	s_nop 0                                                    // 000000006220: BF800000
	s_nop 0                                                    // 000000006224: BF800000
	v_mfma_f32_16x16x16_f16 v[244:247], v[122:123], v[148:149], v[244:247]// 000000006228: D3CD00F4 07D3297A
	ds_write_b32 v13, v86 offset:4480                          // 000000006230: D81A1180 0000560D
	ds_write_b32 v13, v87 offset:5536                          // 000000006238: D81A15A0 0000570D
	s_barrier                                                  // 000000006240: BF8A0000
	v_mfma_f32_16x16x16_f16 a[160:163], a[144:145], v[72:73], a[160:163]// 000000006244: D3CD80A0 0E829190
	buffer_atomic_add_f32 v136, v7, s[32:35], 0 idxen          // 00000000624C: E1342000 80088807
	v_mfma_f32_16x16x16_f16 a[164:167], a[146:147], v[72:73], a[164:167]// 000000006254: D3CD80A4 0E929192
	ds_read_b32 v124, v21 offset:51200                         // 00000000625C: D86CC800 7C000015
	ds_read_b32 v150, v21 offset:51456                         // 000000006264: D86CC900 96000015
	v_mfma_f32_16x16x16_f16 a[168:171], a[148:149], v[72:73], a[168:171]// 00000000626C: D3CD80A8 0EA29194
	s_waitcnt lgkmcnt(6)                                       // 000000006274: BF8CC67F
	s_barrier                                                  // 000000006278: BF8A0000
	v_mfma_f32_16x16x16_f16 a[172:175], a[150:151], v[72:73], a[172:175]// 00000000627C: D3CD80AC 0EB29196
	ds_read_b128 v[48:51], v17 offset:17408                    // 000000006284: D9FE4400 30000011
	v_mfma_f32_16x16x16_f16 a[176:179], a[152:153], v[72:73], a[176:179]// 00000000628C: D3CD80B0 0EC29198
	v_mfma_f32_16x16x16_f16 a[180:183], a[154:155], v[72:73], a[180:183]// 000000006294: D3CD80B4 0ED2919A
	ds_read_b128 v[52:55], v17 offset:18560                    // 00000000629C: D9FE4880 34000011
	v_mfma_f32_16x16x16_f16 a[184:187], a[156:157], v[72:73], a[184:187]// 0000000062A4: D3CD80B8 0EE2919C
	buffer_atomic_add_f32 v137, v8, s[32:35], 0 idxen          // 0000000062AC: E1342000 80088908
	v_mfma_f32_16x16x16_f16 a[188:191], a[158:159], v[72:73], a[188:191]// 0000000062B4: D3CD80BC 0EF2919E
	ds_read_b128 v[56:59], v17 offset:19712                    // 0000000062BC: D9FE4D00 38000011
	v_mfma_f32_16x16x16_f16 a[192:195], a[144:145], v[74:75], a[192:195]// 0000000062C4: D3CD80C0 0F029590
	v_mfma_f32_16x16x16_f16 a[196:199], a[146:147], v[74:75], a[196:199]// 0000000062CC: D3CD80C4 0F129592
	ds_read_b128 v[60:63], v17 offset:20864                    // 0000000062D4: D9FE5180 3C000011
	v_mfma_f32_16x16x16_f16 a[200:203], a[148:149], v[74:75], a[200:203]// 0000000062DC: D3CD80C8 0F229594
	v_mfma_f32_16x16x16_f16 a[204:207], a[150:151], v[74:75], a[204:207]// 0000000062E4: D3CD80CC 0F329596
	ds_read_b128 v[64:67], v17 offset:22016                    // 0000000062EC: D9FE5600 40000011
	v_mfma_f32_16x16x16_f16 a[208:211], a[152:153], v[74:75], a[208:211]// 0000000062F4: D3CD80D0 0F429598
	buffer_atomic_add_f32 v138, v7, s[32:35], 0 idxen offset:128// 0000000062FC: E1342080 80088A07
	v_mfma_f32_16x16x16_f16 a[212:215], a[154:155], v[74:75], a[212:215]// 000000006304: D3CD80D4 0F52959A
	ds_read_b128 v[68:71], v17 offset:23168                    // 00000000630C: D9FE5A80 44000011
	v_mfma_f32_16x16x16_f16 a[216:219], a[156:157], v[74:75], a[216:219]// 000000006314: D3CD80D8 0F62959C
	v_mfma_f32_16x16x16_f16 a[220:223], a[158:159], v[74:75], a[220:223]// 00000000631C: D3CD80DC 0F72959E
	ds_write_b32 v13, v88 offset:13056                         // 000000006324: D81A3300 0000580D
	v_mfma_f32_16x16x16_f16 a[224:227], a[144:145], v[76:77], a[224:227]// 00000000632C: D3CD80E0 0F829990
	v_mfma_f32_16x16x16_f16 a[228:231], a[146:147], v[76:77], a[228:231]// 000000006334: D3CD80E4 0F929992
	ds_write_b32 v13, v89 offset:14112                         // 00000000633C: D81A3720 0000590D
	v_mfma_f32_16x16x16_f16 a[232:235], a[148:149], v[76:77], a[232:235]// 000000006344: D3CD80E8 0FA29994
	buffer_atomic_add_f32 v139, v8, s[32:35], 0 idxen offset:128// 00000000634C: E1342080 80088B08
	v_mfma_f32_16x16x16_f16 a[236:239], a[150:151], v[76:77], a[236:239]// 000000006354: D3CD80EC 0FB29996
	ds_write_b32 v13, v90 offset:13184                         // 00000000635C: D81A3380 00005A0D
	v_mfma_f32_16x16x16_f16 a[240:243], a[152:153], v[76:77], a[240:243]// 000000006364: D3CD80F0 0FC29998
	v_mfma_f32_16x16x16_f16 a[244:247], a[154:155], v[76:77], a[244:247]// 00000000636C: D3CD80F4 0FD2999A
	ds_write_b32 v13, v91 offset:14240                         // 000000006374: D81A37A0 00005B0D
	v_mfma_f32_16x16x16_f16 a[248:251], a[156:157], v[76:77], a[248:251]// 00000000637C: D3CD80F8 0FE2999C
	v_mfma_f32_16x16x16_f16 a[252:255], a[158:159], v[76:77], a[252:255]// 000000006384: D3CD80FC 0FF2999E
	s_waitcnt vmcnt(8) lgkmcnt(4)                              // 00000000638C: BF8C0478
	s_barrier                                                  // 000000006390: BF8A0000
	v_mfma_f32_16x16x16_f16 v[128:131], v[48:49], a[48:49], 0  // 000000006394: D3CD0080 12026130
	v_mul_f32_e32 v124, s49, v124                              // 00000000639C: 0AF8F831
	s_nop 0                                                    // 0000000063A0: BF800000
	v_mfma_f32_16x16x16_f16 v[128:131], v[50:51], a[52:53], v[128:131]// 0000000063A4: D3CD0080 16026932
	ds_read_b128 a[144:147], v10                               // 0000000063AC: DBFE0000 9000000A
	buffer_load_dword v36, v1, s[8:11], 0 idxen                // 0000000063B4: E0502000 80022401
	v_mfma_f32_16x16x16_f16 v[128:131], v[52:53], a[56:57], v[128:131]// 0000000063BC: D3CD0080 16027134
	v_mfma_f32_16x16x16_f16 v[128:131], v[54:55], a[60:61], v[128:131]// 0000000063C4: D3CD0080 16027936
	ds_read_b128 a[148:151], v10 offset:512                    // 0000000063CC: DBFE0200 9400000A
	buffer_load_dword v37, v2, s[8:11], 0 idxen                // 0000000063D4: E0502000 80022502
	v_mfma_f32_16x16x16_f16 v[128:131], v[56:57], a[64:65], v[128:131]// 0000000063DC: D3CD0080 16028138
	v_perm_b32 v84, v33, v32, s63                              // 0000000063E4: D1ED0054 00FE4121
	v_perm_b32 v85, v33, v32, s64                              // 0000000063EC: D1ED0055 01024121
	v_mfma_f32_16x16x16_f16 v[128:131], v[58:59], a[68:69], v[128:131]// 0000000063F4: D3CD0080 1602893A
	ds_read_b128 a[152:155], v10 offset:2176                   // 0000000063FC: DBFE0880 9800000A
	buffer_load_dword v38, v3, s[8:11], 0 idxen                // 000000006404: E0502000 80022603
	v_mfma_f32_16x16x16_f16 v[128:131], v[60:61], a[72:73], v[128:131]// 00000000640C: D3CD0080 1602913C
	v_perm_b32 v86, v35, v34, s63                              // 000000006414: D1ED0056 00FE4523
	v_perm_b32 v87, v35, v34, s64                              // 00000000641C: D1ED0057 01024523
	v_mfma_f32_16x16x16_f16 v[128:131], v[62:63], a[76:77], v[128:131]// 000000006424: D3CD0080 1602993E
	ds_read_b128 a[156:159], v10 offset:2688                   // 00000000642C: DBFE0A80 9C00000A
	buffer_load_dword v39, v4, s[8:11], 0 idxen                // 000000006434: E0502000 80022704
	v_mfma_f32_16x16x16_f16 v[128:131], v[64:65], a[80:81], v[128:131]// 00000000643C: D3CD0080 1602A140
	v_perm_b32 v88, v41, v40, s63                              // 000000006444: D1ED0058 00FE5129
	v_perm_b32 v89, v41, v40, s64                              // 00000000644C: D1ED0059 01025129
	v_mfma_f32_16x16x16_f16 v[128:131], v[66:67], a[84:85], v[128:131]// 000000006454: D3CD0080 1602A942
	ds_read_b128 v[92:95], v10 offset:8704                     // 00000000645C: D9FE2200 5C00000A
	buffer_load_dword v44, v1, s[20:23], 0 idxen               // 000000006464: E0502000 80052C01
	v_mfma_f32_16x16x16_f16 v[128:131], v[68:69], a[88:89], v[128:131]// 00000000646C: D3CD0080 1602B144
	v_perm_b32 v90, v43, v42, s63                              // 000000006474: D1ED005A 00FE552B
	v_perm_b32 v91, v43, v42, s64                              // 00000000647C: D1ED005B 0102552B
	v_mfma_f32_16x16x16_f16 v[128:131], v[70:71], a[92:93], v[128:131]// 000000006484: D3CD0080 1602B946
	ds_read_b128 v[96:99], v10 offset:9216                     // 00000000648C: D9FE2400 6000000A
	buffer_load_dword v45, v2, s[20:23], 0 idxen               // 000000006494: E0502000 80052D02
	v_mfma_f32_16x16x16_f16 v[132:135], v[48:49], a[50:51], 0  // 00000000649C: D3CD0084 12026530
	v_mov_b32_dpp v127, v124 quad_perm:[3,3,3,3] row_mask:0xf bank_mask:0xf// 0000000064A4: 7EFE02FA FF00FF7C
	v_mov_b32_dpp v126, v124 quad_perm:[2,2,2,2] row_mask:0xf bank_mask:0xf// 0000000064AC: 7EFC02FA FF00AA7C
	v_mfma_f32_16x16x16_f16 v[132:135], v[50:51], a[54:55], v[132:135]// 0000000064B4: D3CD0084 16126D32
	ds_read_b128 v[100:103], v10 offset:10880                  // 0000000064BC: D9FE2A80 6400000A
	buffer_load_dword v46, v3, s[20:23], 0 idxen               // 0000000064C4: E0502000 80052E03
	v_mfma_f32_16x16x16_f16 v[132:135], v[52:53], a[58:59], v[132:135]// 0000000064CC: D3CD0084 16127534
	v_mov_b32_dpp v125, v124 quad_perm:[1,1,1,1] row_mask:0xf bank_mask:0xf// 0000000064D4: 7EFA02FA FF00557C
	v_mov_b32_dpp v124, v124 quad_perm:[0,0,0,0] row_mask:0xf bank_mask:0xf// 0000000064DC: 7EF802FA FF00007C
	s_add_u32 s60, 64, s59                                     // 0000000064E4: 803C3BC0
	v_mfma_f32_16x16x16_f16 v[132:135], v[54:55], a[62:63], v[132:135]// 0000000064E8: D3CD0084 16127D36
	ds_read_b128 v[104:107], v10 offset:11392                  // 0000000064F0: D9FE2C80 6800000A
	buffer_load_dword v47, v4, s[20:23], 0 idxen               // 0000000064F8: E0502000 80052F04
	v_mfma_f32_16x16x16_f16 v[132:135], v[56:57], a[66:67], v[132:135]// 000000006500: D3CD0084 16128538
	s_cmp_lt_u32 s60, s58                                      // 000000006508: BF0A3A3C
	s_cselect_b32 s68, s68, 0                                  // 00000000650C: 85448044
	s_cselect_b32 s69, s69, 0                                  // 000000006510: 85458045
	v_mfma_f32_16x16x16_f16 v[132:135], v[58:59], a[70:71], v[132:135]// 000000006514: D3CD0084 16128D3A
	buffer_load_dword v9, s[24:27], 0 idxen lds                // 00000000651C: E0512000 80060009
	v_mfma_f32_16x16x16_f16 v[132:135], v[60:61], a[74:75], v[132:135]// 000000006524: D3CD0084 1612953C
	s_add_u32 s8, s68, s8                                      // 00000000652C: 80080844
	s_addc_u32 s9, 0, s9                                       // 000000006530: 82090980
	v_mfma_f32_16x16x16_f16 v[132:135], v[62:63], a[78:79], v[132:135]// 000000006534: D3CD0084 16129D3E
	s_add_u32 s20, s68, s20                                    // 00000000653C: 80141444
	s_addc_u32 s21, 0, s21                                     // 000000006540: 82151580
	v_mfma_f32_16x16x16_f16 v[132:135], v[64:65], a[82:83], v[132:135]// 000000006544: D3CD0084 1612A540
	s_mov_b32 m0, s74                                          // 00000000654C: BEFC004A
	v_add_u32_e32 v9, s69, v9                                  // 000000006550: 68121245
	v_mfma_f32_16x16x16_f16 v[132:135], v[66:67], a[86:87], v[132:135]// 000000006554: D3CD0084 1612AD42
	s_cmp_ge_u32 s59, 16                                       // 00000000655C: BF09903B
	s_cselect_b32 s66, s67, s66                                // 000000006560: 85424243
	v_mfma_f32_16x16x16_f16 v[132:135], v[68:69], a[90:91], v[132:135]// 000000006564: D3CD0084 1612B544
	s_addk_i32 s59, 0x10                                       // 00000000656C: B73B0010
	s_nop 0                                                    // 000000006570: BF800000
	s_cmp_lt_i32 s59, s58                                      // 000000006574: BF043A3B
	v_mfma_f32_16x16x16_f16 v[132:135], v[70:71], a[94:95], v[132:135]// 000000006578: D3CD0084 1612BD46
	s_cbranch_scc0 label_0C2B                                  // 000000006580: BF84024A
	s_waitcnt lgkmcnt(4)                                       // 000000006584: BF8CC47F
	s_barrier                                                  // 000000006588: BF8A0000
	v_mfma_f32_16x16x16_f16 v[48:51], a[144:145], a[0:1], 0    // 00000000658C: D3CD0030 1A020190
	ds_write_b32 v11, v40 offset:8704                          // 000000006594: D81A2200 0000280B
	ds_write_b32 v11, v41 offset:9760                          // 00000000659C: D81A2620 0000290B
	v_mfma_f32_16x16x16_f16 v[48:51], a[146:147], a[2:3], v[48:51]// 0000000065A4: D3CD0030 1CC20592
	v_mul_f32_e32 v128, s48, v128                              // 0000000065AC: 0B010030
	v_mul_f32_e32 v129, s48, v129                              // 0000000065B0: 0B030230
	v_mfma_f32_16x16x16_f16 v[48:51], a[148:149], a[4:5], v[48:51]// 0000000065B4: D3CD0030 1CC20994
	ds_write_b32 v11, v42 offset:8832                          // 0000000065BC: D81A2280 00002A0B
	ds_write_b32 v11, v43 offset:9888                          // 0000000065C4: D81A26A0 00002B0B
	v_mfma_f32_16x16x16_f16 v[48:51], a[150:151], a[6:7], v[48:51]// 0000000065CC: D3CD0030 1CC20D96
	v_mul_f32_e32 v130, s48, v130                              // 0000000065D4: 0B050430
	v_mul_f32_e32 v131, s48, v131                              // 0000000065D8: 0B070630
	v_mfma_f32_16x16x16_f16 v[48:51], a[152:153], a[8:9], v[48:51]// 0000000065DC: D3CD0030 1CC21198
	ds_write_b64 v20, v[128:129] offset:24320                  // 0000000065E4: D89A5F00 00008014
	v_mfma_f32_16x16x16_f16 v[48:51], a[154:155], a[10:11], v[48:51]// 0000000065EC: D3CD0030 1CC2159A
	v_mul_f32_e32 v132, s48, v132                              // 0000000065F4: 0B090830
	v_mul_f32_e32 v133, s48, v133                              // 0000000065F8: 0B0B0A30
	v_mfma_f32_16x16x16_f16 v[48:51], a[156:157], a[12:13], v[48:51]// 0000000065FC: D3CD0030 1CC2199C
	ds_write_b64 v20, v[130:131] offset:24832                  // 000000006604: D89A6100 00008214
	v_mfma_f32_16x16x16_f16 v[48:51], a[158:159], a[14:15], v[48:51]// 00000000660C: D3CD0030 1CC21D9E
	v_mul_f32_e32 v134, s48, v134                              // 000000006614: 0B0D0C30
	v_mul_f32_e32 v135, s48, v135                              // 000000006618: 0B0F0E30
	v_mfma_f32_16x16x16_f16 v[52:55], a[144:145], a[16:17], 0  // 00000000661C: D3CD0034 1A022190
	ds_write_b64 v20, v[132:133] offset:25344                  // 000000006624: D89A6300 00008414
	v_mfma_f32_16x16x16_f16 v[52:55], a[146:147], a[18:19], v[52:55]// 00000000662C: D3CD0034 1CD22592
	buffer_atomic_add_f32 v140, v7, s[32:35], 0 idxen offset:256// 000000006634: E1342100 80088C07
	v_mfma_f32_16x16x16_f16 v[52:55], a[148:149], a[20:21], v[52:55]// 00000000663C: D3CD0034 1CD22994
	ds_write_b64 v20, v[134:135] offset:25856                  // 000000006644: D89A6500 00008614
	v_mfma_f32_16x16x16_f16 v[52:55], a[150:151], a[22:23], v[52:55]// 00000000664C: D3CD0034 1CD22D96
	v_mfma_f32_16x16x16_f16 v[52:55], a[152:153], a[24:25], v[52:55]// 000000006654: D3CD0034 1CD23198
	ds_read_b128 v[108:111], v12 offset:13056                  // 00000000665C: D9FE3300 6C00000C
	ds_write_b32 v11, v32                                      // 000000006664: D81A0000 0000200B
	v_mfma_f32_16x16x16_f16 v[52:55], a[154:155], a[26:27], v[52:55]// 00000000666C: D3CD0034 1CD2359A
	buffer_atomic_add_f32 v141, v8, s[32:35], 0 idxen offset:256// 000000006674: E1342100 80088D08
	v_mfma_f32_16x16x16_f16 v[52:55], a[156:157], a[28:29], v[52:55]// 00000000667C: D3CD0034 1CD2399C
	v_mfma_f32_16x16x16_f16 v[52:55], a[158:159], a[30:31], v[52:55]// 000000006684: D3CD0034 1CD23D9E
	ds_read_b128 v[112:115], v12 offset:13568                  // 00000000668C: D9FE3500 7000000C
	ds_write_b32 v11, v33 offset:1056                          // 000000006694: D81A0420 0000210B
	v_mfma_f32_16x16x16_f16 v[56:59], a[144:145], a[32:33], 0  // 00000000669C: D3CD0038 1A024190
	buffer_atomic_add_f32 v142, v7, s[32:35], 0 idxen offset:384// 0000000066A4: E1342180 80088E07
	v_mfma_f32_16x16x16_f16 v[56:59], a[146:147], a[34:35], v[56:59]// 0000000066AC: D3CD0038 1CE24592
	v_mfma_f32_16x16x16_f16 v[56:59], a[148:149], a[36:37], v[56:59]// 0000000066B4: D3CD0038 1CE24994
	ds_read_b128 v[116:119], v12 offset:15232                  // 0000000066BC: D9FE3B80 7400000C
	ds_write_b32 v11, v34 offset:128                           // 0000000066C4: D81A0080 0000220B
	v_mfma_f32_16x16x16_f16 v[56:59], a[150:151], a[38:39], v[56:59]// 0000000066CC: D3CD0038 1CE24D96
	v_mfma_f32_16x16x16_f16 v[56:59], a[152:153], a[40:41], v[56:59]// 0000000066D4: D3CD0038 1CE25198
	buffer_atomic_add_f32 v143, v8, s[32:35], 0 idxen offset:384// 0000000066DC: E1342180 80088F08
	v_mfma_f32_16x16x16_f16 v[56:59], a[154:155], a[42:43], v[56:59]// 0000000066E4: D3CD0038 1CE2559A
	ds_read_b128 v[120:123], v12 offset:15744                  // 0000000066EC: D9FE3D80 7800000C
	ds_write_b32 v11, v35 offset:1184                          // 0000000066F4: D81A04A0 0000230B
	v_mfma_f32_16x16x16_f16 v[56:59], a[156:157], a[44:45], v[56:59]// 0000000066FC: D3CD0038 1CE2599C
	v_mfma_f32_16x16x16_f16 v[56:59], a[158:159], a[46:47], v[56:59]// 000000006704: D3CD0038 1CE25D9E
	s_cmp_lt_i32 s73, 3                                        // 00000000670C: BF048349
	s_cbranch_scc0 label_0A54                                  // 000000006710: BF84000F
	s_cmp_eq_i32 s73, 1                                        // 000000006714: BF008149
	s_cbranch_scc1 label_0A4A                                  // 000000006718: BF850003
	s_cmp_eq_i32 s73, 2                                        // 00000000671C: BF008249
	s_cbranch_scc1 label_0A4F                                  // 000000006720: BF850006
	s_branch label_0A54                                        // 000000006724: BF82000A

0000000000006728 <label_0A4A>:
	v_mov_b32_e32 v52, v151                                    // 000000006728: 7E680397
	v_mov_b32_e32 v53, v151                                    // 00000000672C: 7E6A0397
	v_mov_b32_e32 v54, v151                                    // 000000006730: 7E6C0397
	v_mov_b32_e32 v55, v151                                    // 000000006734: 7E6E0397
	s_branch label_0A4F                                        // 000000006738: BF820000

000000000000673c <label_0A4F>:
	v_mov_b32_e32 v56, v151                                    // 00000000673C: 7E700397
	v_mov_b32_e32 v57, v151                                    // 000000006740: 7E720397
	v_mov_b32_e32 v58, v151                                    // 000000006744: 7E740397
	v_mov_b32_e32 v59, v151                                    // 000000006748: 7E760397
	s_branch label_0A54                                        // 00000000674C: BF820000

0000000000006750 <label_0A54>:
	s_waitcnt lgkmcnt(8)                                       // 000000006750: BF8CC87F
	s_barrier                                                  // 000000006754: BF8A0000
	v_mfma_f32_16x16x16_f16 v[72:75], v[92:93], a[96:97], 0    // 000000006758: D3CD0048 1202C15C
	ds_read_b128 a[144:147], v12 offset:4352                   // 000000006760: DBFE1100 9000000C
	ds_read_b128 a[148:151], v12 offset:4864                   // 000000006768: DBFE1300 9400000C
	v_mfma_f32_16x16x16_f16 v[72:75], v[94:95], a[98:99], v[72:75]// 000000006770: D3CD0048 1522C55E
	v_fma_f32 v48, v48, s57, -v124                             // 000000006778: D1CB0030 85F07330
	v_fma_f32 v49, v49, s57, -v125                             // 000000006780: D1CB0031 85F47331
	v_fma_f32 v50, v50, s57, -v126                             // 000000006788: D1CB0032 85F87332
	v_mfma_f32_16x16x16_f16 v[72:75], v[96:97], a[100:101], v[72:75]// 000000006790: D3CD0048 1522C960
	v_fma_f32 v51, v51, s57, -v127                             // 000000006798: D1CB0033 85FC7333
	v_fma_f32 v52, v52, s57, -v124                             // 0000000067A0: D1CB0034 85F07334
	v_fma_f32 v53, v53, s57, -v125                             // 0000000067A8: D1CB0035 85F47335
	v_mfma_f32_16x16x16_f16 v[72:75], v[98:99], a[102:103], v[72:75]// 0000000067B0: D3CD0048 1522CD62
	v_fma_f32 v54, v54, s57, -v126                             // 0000000067B8: D1CB0036 85F87336
	v_fma_f32 v55, v55, s57, -v127                             // 0000000067C0: D1CB0037 85FC7337
	v_fma_f32 v56, v56, s57, -v124                             // 0000000067C8: D1CB0038 85F07338
	v_mfma_f32_16x16x16_f16 v[72:75], v[100:101], a[104:105], v[72:75]// 0000000067D0: D3CD0048 1522D164
	ds_read_b128 a[152:155], v12 offset:6528                   // 0000000067D8: DBFE1980 9800000C
	ds_read_b128 a[156:159], v12 offset:7040                   // 0000000067E0: DBFE1B80 9C00000C
	v_mfma_f32_16x16x16_f16 v[72:75], v[102:103], a[106:107], v[72:75]// 0000000067E8: D3CD0048 1522D566
	v_fma_f32 v57, v57, s57, -v125                             // 0000000067F0: D1CB0039 85F47339
	v_fma_f32 v58, v58, s57, -v126                             // 0000000067F8: D1CB003A 85F8733A
	v_fma_f32 v59, v59, s57, -v127                             // 000000006800: D1CB003B 85FC733B
	v_mfma_f32_16x16x16_f16 v[72:75], v[104:105], a[108:109], v[72:75]// 000000006808: D3CD0048 1522D968
	v_exp_f32_e32 v48, v48                                     // 000000006810: 7E604130
	v_mfma_f32_16x16x16_f16 v[72:75], v[106:107], a[110:111], v[72:75]// 000000006814: D3CD0048 1522DD6A
	v_exp_f32_e32 v49, v49                                     // 00000000681C: 7E624131
	v_mfma_f32_16x16x16_f16 v[76:79], v[92:93], a[112:113], 0  // 000000006820: D3CD004C 1202E15C
	ds_read_b64 v[136:137], v19 offset:24320                   // 000000006828: D8EC5F00 88000013
	ds_read_b64 v[138:139], v19 offset:26368                   // 000000006830: D8EC6700 8A000013
	v_mfma_f32_16x16x16_f16 v[76:79], v[94:95], a[114:115], v[76:79]// 000000006838: D3CD004C 1532E55E
	v_exp_f32_e32 v50, v50                                     // 000000006840: 7E644132
	v_mfma_f32_16x16x16_f16 v[76:79], v[96:97], a[116:117], v[76:79]// 000000006844: D3CD004C 1532E960
	ds_read_b64 v[140:141], v19 offset:28416                   // 00000000684C: D8EC6F00 8C000013
	ds_read_b64 v[142:143], v19 offset:30464                   // 000000006854: D8EC7700 8E000013
	v_mfma_f32_16x16x16_f16 v[76:79], v[98:99], a[118:119], v[76:79]// 00000000685C: D3CD004C 1532ED62
	v_exp_f32_e32 v51, v51                                     // 000000006864: 7E664133
	v_mfma_f32_16x16x16_f16 v[76:79], v[100:101], a[120:121], v[76:79]// 000000006868: D3CD004C 1532F164
	v_exp_f32_e32 v52, v52                                     // 000000006870: 7E684134
	v_mfma_f32_16x16x16_f16 v[76:79], v[102:103], a[122:123], v[76:79]// 000000006874: D3CD004C 1532F566
	v_exp_f32_e32 v53, v53                                     // 00000000687C: 7E6A4135
	v_mfma_f32_16x16x16_f16 v[76:79], v[104:105], a[124:125], v[76:79]// 000000006880: D3CD004C 1532F968
	v_exp_f32_e32 v54, v54                                     // 000000006888: 7E6C4136
	v_mfma_f32_16x16x16_f16 v[76:79], v[106:107], a[126:127], v[76:79]// 00000000688C: D3CD004C 1532FD6A
	v_exp_f32_e32 v55, v55                                     // 000000006894: 7E6E4137
	v_mfma_f32_16x16x16_f16 v[80:83], v[92:93], a[128:129], 0  // 000000006898: D3CD0050 1203015C
	v_exp_f32_e32 v56, v56                                     // 0000000068A0: 7E704138
	v_mfma_f32_16x16x16_f16 v[80:83], v[94:95], a[130:131], v[80:83]// 0000000068A4: D3CD0050 1543055E
	v_exp_f32_e32 v57, v57                                     // 0000000068AC: 7E724139
	v_mfma_f32_16x16x16_f16 v[80:83], v[96:97], a[132:133], v[80:83]// 0000000068B0: D3CD0050 15430960
	v_exp_f32_e32 v58, v58                                     // 0000000068B8: 7E74413A
	v_mfma_f32_16x16x16_f16 v[80:83], v[98:99], a[134:135], v[80:83]// 0000000068BC: D3CD0050 15430D62
	v_exp_f32_e32 v59, v59                                     // 0000000068C4: 7E76413B
	v_mfma_f32_16x16x16_f16 v[80:83], v[100:101], a[136:137], v[80:83]// 0000000068C8: D3CD0050 15431164
	v_cvt_pkrtz_f16_f32 v144, v48, v49                         // 0000000068D0: D2960090 00026330
	v_cvt_pkrtz_f16_f32 v145, v50, v51                         // 0000000068D8: D2960091 00026732
	v_cvt_pkrtz_f16_f32 v146, v52, v53                         // 0000000068E0: D2960092 00026B34
	v_mfma_f32_16x16x16_f16 v[80:83], v[102:103], a[138:139], v[80:83]// 0000000068E8: D3CD0050 15431566
	v_cvt_pkrtz_f16_f32 v147, v54, v55                         // 0000000068F0: D2960093 00026F36
	v_cvt_pkrtz_f16_f32 v148, v56, v57                         // 0000000068F8: D2960094 00027338
	v_cvt_pkrtz_f16_f32 v149, v58, v59                         // 000000006900: D2960095 0002773A
	v_mfma_f32_16x16x16_f16 v[80:83], v[104:105], a[140:141], v[80:83]// 000000006908: D3CD0050 15431968
	s_add_u32 s32, s66, s32                                    // 000000006910: 80202042
	s_addc_u32 s33, 0, s33                                     // 000000006914: 82212180
	v_mfma_f32_16x16x16_f16 v[80:83], v[106:107], a[142:143], v[80:83]// 000000006918: D3CD0050 15431D6A
	s_waitcnt lgkmcnt(0)                                       // 000000006920: BF8CC07F
	s_barrier                                                  // 000000006924: BF8A0000
	v_mfma_f32_16x16x16_f16 v[152:155], v[108:109], v[144:145], v[152:155]// 000000006928: D3CD0098 0663216C
	v_subrev_f32_dpp v72, v150, v72 quad_perm:[0,0,0,0] row_mask:0xf bank_mask:0xf// 000000006930: 069090FA FF000096
	v_subrev_f32_dpp v73, v150, v73 quad_perm:[1,1,1,1] row_mask:0xf bank_mask:0xf// 000000006938: 069292FA FF005596
	v_subrev_f32_dpp v74, v150, v74 quad_perm:[2,2,2,2] row_mask:0xf bank_mask:0xf// 000000006940: 069494FA FF00AA96
	v_mfma_f32_16x16x16_f16 v[156:159], v[110:111], v[144:145], v[156:159]// 000000006948: D3CD009C 0673216E
	v_subrev_f32_dpp v75, v150, v75 quad_perm:[3,3,3,3] row_mask:0xf bank_mask:0xf// 000000006950: 069696FA FF00FF96
	v_subrev_f32_dpp v76, v150, v76 quad_perm:[0,0,0,0] row_mask:0xf bank_mask:0xf// 000000006958: 069898FA FF000096
	v_subrev_f32_dpp v77, v150, v77 quad_perm:[1,1,1,1] row_mask:0xf bank_mask:0xf// 000000006960: 069A9AFA FF005596
	v_mfma_f32_16x16x16_f16 v[160:163], v[112:113], v[144:145], v[160:163]// 000000006968: D3CD00A0 06832170
	v_mul_f32_e32 v72, v48, v72                                // 000000006970: 0A909130
	v_mul_f32_e32 v73, v49, v73                                // 000000006974: 0A929331
	v_mul_f32_e32 v74, v50, v74                                // 000000006978: 0A949532
	v_mfma_f32_16x16x16_f16 v[164:167], v[114:115], v[144:145], v[164:167]// 00000000697C: D3CD00A4 06932172
	v_mul_f32_e32 v75, v51, v75                                // 000000006984: 0A969733
	v_mul_f32_e32 v76, v52, v76                                // 000000006988: 0A989934
	v_mul_f32_e32 v77, v53, v77                                // 00000000698C: 0A9A9B35
	v_mfma_f32_16x16x16_f16 v[168:171], v[116:117], v[144:145], v[168:171]// 000000006990: D3CD00A8 06A32174
	v_cvt_pkrtz_f16_f32 v72, v72, v73                          // 000000006998: D2960048 00029348
	v_cvt_pkrtz_f16_f32 v73, v74, v75                          // 0000000069A0: D2960049 0002974A
	v_cvt_pkrtz_f16_f32 v74, v76, v77                          // 0000000069A8: D296004A 00029B4C
	v_mfma_f32_16x16x16_f16 v[172:175], v[118:119], v[144:145], v[172:175]// 0000000069B0: D3CD00AC 06B32176
	v_mov_b32_dpp v16, v72 quad_perm:[1,0,3,2] row_mask:0xf bank_mask:0xf// 0000000069B8: 7E2002FA FF00B148
	v_perm_b32 v48, v16, v72, v15                              // 0000000069C0: D1ED0030 043E9110
	v_mov_b32_dpp v16, v73 quad_perm:[1,0,3,2] row_mask:0xf bank_mask:0xf// 0000000069C8: 7E2002FA FF00B149
	v_mfma_f32_16x16x16_f16 v[176:179], v[120:121], v[144:145], v[176:179]// 0000000069D0: D3CD00B0 06C32178
	v_perm_b32 v49, v16, v73, v15                              // 0000000069D8: D1ED0031 043E9310
	v_mov_b32_dpp v16, v74 quad_perm:[1,0,3,2] row_mask:0xf bank_mask:0xf// 0000000069E0: 7E2002FA FF00B14A
	v_perm_b32 v50, v16, v74, v15                              // 0000000069E8: D1ED0032 043E9510
	v_mfma_f32_16x16x16_f16 v[180:183], v[122:123], v[144:145], v[180:183]// 0000000069F0: D3CD00B4 06D3217A
	ds_write_b32 v18, v48 offset:17408                         // 0000000069F8: D81A4400 00003012
	v_mfma_f32_16x16x16_f16 v[184:187], v[108:109], v[146:147], v[184:187]// 000000006A00: D3CD00B8 06E3256C
	v_subrev_f32_dpp v78, v150, v78 quad_perm:[2,2,2,2] row_mask:0xf bank_mask:0xf// 000000006A08: 069C9CFA FF00AA96
	v_subrev_f32_dpp v79, v150, v79 quad_perm:[3,3,3,3] row_mask:0xf bank_mask:0xf// 000000006A10: 069E9EFA FF00FF96
	v_subrev_f32_dpp v80, v150, v80 quad_perm:[0,0,0,0] row_mask:0xf bank_mask:0xf// 000000006A18: 06A0A0FA FF000096
	v_mfma_f32_16x16x16_f16 v[188:191], v[110:111], v[146:147], v[188:191]// 000000006A20: D3CD00BC 06F3256E
	ds_write_b32 v18, v49 offset:17952                         // 000000006A28: D81A4620 00003112
	v_mfma_f32_16x16x16_f16 v[192:195], v[112:113], v[146:147], v[192:195]// 000000006A30: D3CD00C0 07032570
	v_subrev_f32_dpp v81, v150, v81 quad_perm:[1,1,1,1] row_mask:0xf bank_mask:0xf// 000000006A38: 06A2A2FA FF005596
	v_subrev_f32_dpp v82, v150, v82 quad_perm:[2,2,2,2] row_mask:0xf bank_mask:0xf// 000000006A40: 06A4A4FA FF00AA96
	v_subrev_f32_dpp v83, v150, v83 quad_perm:[3,3,3,3] row_mask:0xf bank_mask:0xf// 000000006A48: 06A6A6FA FF00FF96
	v_mfma_f32_16x16x16_f16 v[196:199], v[114:115], v[146:147], v[196:199]// 000000006A50: D3CD00C4 07132572
	ds_write_b32 v18, v50 offset:19712                         // 000000006A58: D81A4D00 00003212
	v_mfma_f32_16x16x16_f16 v[200:203], v[116:117], v[146:147], v[200:203]// 000000006A60: D3CD00C8 07232574
	v_mul_f32_e32 v78, v54, v78                                // 000000006A68: 0A9C9D36
	v_mul_f32_e32 v79, v55, v79                                // 000000006A6C: 0A9E9F37
	v_mul_f32_e32 v80, v56, v80                                // 000000006A70: 0AA0A138
	v_mfma_f32_16x16x16_f16 v[204:207], v[118:119], v[146:147], v[204:207]// 000000006A74: D3CD00CC 07332576
	v_mul_f32_e32 v81, v57, v81                                // 000000006A7C: 0AA2A339
	v_mul_f32_e32 v82, v58, v82                                // 000000006A80: 0AA4A53A
	v_mul_f32_e32 v83, v59, v83                                // 000000006A84: 0AA6A73B
	v_mfma_f32_16x16x16_f16 v[208:211], v[120:121], v[146:147], v[208:211]// 000000006A88: D3CD00D0 07432578
	v_cvt_pkrtz_f16_f32 v75, v78, v79                          // 000000006A90: D296004B 00029F4E
	v_cvt_pkrtz_f16_f32 v76, v80, v81                          // 000000006A98: D296004C 0002A350
	v_cvt_pkrtz_f16_f32 v77, v82, v83                          // 000000006AA0: D296004D 0002A752
	v_mfma_f32_16x16x16_f16 v[212:215], v[122:123], v[146:147], v[212:215]// 000000006AA8: D3CD00D4 0753257A
	v_mov_b32_dpp v16, v75 quad_perm:[1,0,3,2] row_mask:0xf bank_mask:0xf// 000000006AB0: 7E2002FA FF00B14B
	v_perm_b32 v51, v16, v75, v15                              // 000000006AB8: D1ED0033 043E9710
	v_mov_b32_dpp v16, v76 quad_perm:[1,0,3,2] row_mask:0xf bank_mask:0xf// 000000006AC0: 7E2002FA FF00B14C
	v_mfma_f32_16x16x16_f16 v[216:219], v[108:109], v[148:149], v[216:219]// 000000006AC8: D3CD00D8 0763296C
	v_perm_b32 v52, v16, v76, v15                              // 000000006AD0: D1ED0034 043E9910
	v_mov_b32_dpp v16, v77 quad_perm:[1,0,3,2] row_mask:0xf bank_mask:0xf// 000000006AD8: 7E2002FA FF00B14D
	v_perm_b32 v53, v16, v77, v15                              // 000000006AE0: D1ED0035 043E9B10
	v_mfma_f32_16x16x16_f16 v[220:223], v[110:111], v[148:149], v[220:223]// 000000006AE8: D3CD00DC 0773296E
	ds_write_b32 v18, v51 offset:20256                         // 000000006AF0: D81A4F20 00003312
	v_mfma_f32_16x16x16_f16 v[224:227], v[112:113], v[148:149], v[224:227]// 000000006AF8: D3CD00E0 07832970
	v_mfma_f32_16x16x16_f16 v[228:231], v[114:115], v[148:149], v[228:231]// 000000006B00: D3CD00E4 07932972
	ds_write_b32 v18, v52 offset:22016                         // 000000006B08: D81A5600 00003412
	ds_write_b32 v18, v53 offset:22560                         // 000000006B10: D81A5820 00003512
	v_mfma_f32_16x16x16_f16 v[232:235], v[116:117], v[148:149], v[232:235]// 000000006B18: D3CD00E8 07A32974
	v_mfma_f32_16x16x16_f16 v[236:239], v[118:119], v[148:149], v[236:239]// 000000006B20: D3CD00EC 07B32976
	ds_write_b32 v13, v84 offset:4352                          // 000000006B28: D81A1100 0000540D
	ds_write_b32 v13, v85 offset:5408                          // 000000006B30: D81A1520 0000550D
	v_mfma_f32_16x16x16_f16 v[240:243], v[120:121], v[148:149], v[240:243]// 000000006B38: D3CD00F0 07C32978
	s_nop 0                                                    // 000000006B40: BF800000
	s_nop 0                                                    // 000000006B44: BF800000
	s_nop 0                                                    // 000000006B48: BF800000
	v_mfma_f32_16x16x16_f16 v[244:247], v[122:123], v[148:149], v[244:247]// 000000006B4C: D3CD00F4 07D3297A
	ds_write_b32 v13, v86 offset:4480                          // 000000006B54: D81A1180 0000560D
	ds_write_b32 v13, v87 offset:5536                          // 000000006B5C: D81A15A0 0000570D
	s_barrier                                                  // 000000006B64: BF8A0000
	v_mfma_f32_16x16x16_f16 a[160:163], a[144:145], v[72:73], a[160:163]// 000000006B68: D3CD80A0 0E829190
	buffer_atomic_add_f32 v136, v7, s[32:35], 0 idxen          // 000000006B70: E1342000 80088807
	v_mfma_f32_16x16x16_f16 a[164:167], a[146:147], v[72:73], a[164:167]// 000000006B78: D3CD80A4 0E929192
	ds_read_b32 v124, v21 offset:50688                         // 000000006B80: D86CC600 7C000015
	ds_read_b32 v150, v21 offset:50944                         // 000000006B88: D86CC700 96000015
	v_mfma_f32_16x16x16_f16 a[168:171], a[148:149], v[72:73], a[168:171]// 000000006B90: D3CD80A8 0EA29194
	s_waitcnt lgkmcnt(6)                                       // 000000006B98: BF8CC67F
	s_barrier                                                  // 000000006B9C: BF8A0000
	v_mfma_f32_16x16x16_f16 a[172:175], a[150:151], v[72:73], a[172:175]// 000000006BA0: D3CD80AC 0EB29196
	ds_read_b128 v[48:51], v17 offset:17408                    // 000000006BA8: D9FE4400 30000011
	v_mfma_f32_16x16x16_f16 a[176:179], a[152:153], v[72:73], a[176:179]// 000000006BB0: D3CD80B0 0EC29198
	v_mfma_f32_16x16x16_f16 a[180:183], a[154:155], v[72:73], a[180:183]// 000000006BB8: D3CD80B4 0ED2919A
	ds_read_b128 v[52:55], v17 offset:18560                    // 000000006BC0: D9FE4880 34000011
	v_mfma_f32_16x16x16_f16 a[184:187], a[156:157], v[72:73], a[184:187]// 000000006BC8: D3CD80B8 0EE2919C
	buffer_atomic_add_f32 v137, v8, s[32:35], 0 idxen          // 000000006BD0: E1342000 80088908
	v_mfma_f32_16x16x16_f16 a[188:191], a[158:159], v[72:73], a[188:191]// 000000006BD8: D3CD80BC 0EF2919E
	ds_read_b128 v[56:59], v17 offset:19712                    // 000000006BE0: D9FE4D00 38000011
	v_mfma_f32_16x16x16_f16 a[192:195], a[144:145], v[74:75], a[192:195]// 000000006BE8: D3CD80C0 0F029590
	v_mfma_f32_16x16x16_f16 a[196:199], a[146:147], v[74:75], a[196:199]// 000000006BF0: D3CD80C4 0F129592
	ds_read_b128 v[60:63], v17 offset:20864                    // 000000006BF8: D9FE5180 3C000011
	v_mfma_f32_16x16x16_f16 a[200:203], a[148:149], v[74:75], a[200:203]// 000000006C00: D3CD80C8 0F229594
	v_mfma_f32_16x16x16_f16 a[204:207], a[150:151], v[74:75], a[204:207]// 000000006C08: D3CD80CC 0F329596
	ds_read_b128 v[64:67], v17 offset:22016                    // 000000006C10: D9FE5600 40000011
	v_mfma_f32_16x16x16_f16 a[208:211], a[152:153], v[74:75], a[208:211]// 000000006C18: D3CD80D0 0F429598
	buffer_atomic_add_f32 v138, v7, s[32:35], 0 idxen offset:128// 000000006C20: E1342080 80088A07
	v_mfma_f32_16x16x16_f16 a[212:215], a[154:155], v[74:75], a[212:215]// 000000006C28: D3CD80D4 0F52959A
	ds_read_b128 v[68:71], v17 offset:23168                    // 000000006C30: D9FE5A80 44000011
	v_mfma_f32_16x16x16_f16 a[216:219], a[156:157], v[74:75], a[216:219]// 000000006C38: D3CD80D8 0F62959C
	v_mfma_f32_16x16x16_f16 a[220:223], a[158:159], v[74:75], a[220:223]// 000000006C40: D3CD80DC 0F72959E
	ds_write_b32 v13, v88 offset:13056                         // 000000006C48: D81A3300 0000580D
	v_mfma_f32_16x16x16_f16 a[224:227], a[144:145], v[76:77], a[224:227]// 000000006C50: D3CD80E0 0F829990
	v_mfma_f32_16x16x16_f16 a[228:231], a[146:147], v[76:77], a[228:231]// 000000006C58: D3CD80E4 0F929992
	ds_write_b32 v13, v89 offset:14112                         // 000000006C60: D81A3720 0000590D
	v_mfma_f32_16x16x16_f16 a[232:235], a[148:149], v[76:77], a[232:235]// 000000006C68: D3CD80E8 0FA29994
	buffer_atomic_add_f32 v139, v8, s[32:35], 0 idxen offset:128// 000000006C70: E1342080 80088B08
	v_mfma_f32_16x16x16_f16 a[236:239], a[150:151], v[76:77], a[236:239]// 000000006C78: D3CD80EC 0FB29996
	ds_write_b32 v13, v90 offset:13184                         // 000000006C80: D81A3380 00005A0D
	v_mfma_f32_16x16x16_f16 a[240:243], a[152:153], v[76:77], a[240:243]// 000000006C88: D3CD80F0 0FC29998
	v_mfma_f32_16x16x16_f16 a[244:247], a[154:155], v[76:77], a[244:247]// 000000006C90: D3CD80F4 0FD2999A
	ds_write_b32 v13, v91 offset:14240                         // 000000006C98: D81A37A0 00005B0D
	v_mfma_f32_16x16x16_f16 a[248:251], a[156:157], v[76:77], a[248:251]// 000000006CA0: D3CD80F8 0FE2999C
	v_mfma_f32_16x16x16_f16 a[252:255], a[158:159], v[76:77], a[252:255]// 000000006CA8: D3CD80FC 0FF2999E
	s_waitcnt vmcnt(8) lgkmcnt(4)                              // 000000006CB0: BF8C0478
	s_barrier                                                  // 000000006CB4: BF8A0000
	v_mfma_f32_16x16x16_f16 v[128:131], v[48:49], a[48:49], 0  // 000000006CB8: D3CD0080 12026130
	v_mul_f32_e32 v124, s49, v124                              // 000000006CC0: 0AF8F831
	s_nop 0                                                    // 000000006CC4: BF800000
	v_mfma_f32_16x16x16_f16 v[128:131], v[50:51], a[52:53], v[128:131]// 000000006CC8: D3CD0080 16026932
	ds_read_b128 a[144:147], v10                               // 000000006CD0: DBFE0000 9000000A
	buffer_load_dword v32, v1, s[8:11], 0 idxen                // 000000006CD8: E0502000 80022001
	v_mfma_f32_16x16x16_f16 v[128:131], v[52:53], a[56:57], v[128:131]// 000000006CE0: D3CD0080 16027134
	v_mfma_f32_16x16x16_f16 v[128:131], v[54:55], a[60:61], v[128:131]// 000000006CE8: D3CD0080 16027936
	ds_read_b128 a[148:151], v10 offset:512                    // 000000006CF0: DBFE0200 9400000A
	buffer_load_dword v33, v2, s[8:11], 0 idxen                // 000000006CF8: E0502000 80022102
	v_mfma_f32_16x16x16_f16 v[128:131], v[56:57], a[64:65], v[128:131]// 000000006D00: D3CD0080 16028138
	v_perm_b32 v84, v37, v36, s63                              // 000000006D08: D1ED0054 00FE4925
	v_perm_b32 v85, v37, v36, s64                              // 000000006D10: D1ED0055 01024925
	v_mfma_f32_16x16x16_f16 v[128:131], v[58:59], a[68:69], v[128:131]// 000000006D18: D3CD0080 1602893A
	ds_read_b128 a[152:155], v10 offset:2176                   // 000000006D20: DBFE0880 9800000A
	buffer_load_dword v34, v3, s[8:11], 0 idxen                // 000000006D28: E0502000 80022203
	v_mfma_f32_16x16x16_f16 v[128:131], v[60:61], a[72:73], v[128:131]// 000000006D30: D3CD0080 1602913C
	v_perm_b32 v86, v39, v38, s63                              // 000000006D38: D1ED0056 00FE4D27
	v_perm_b32 v87, v39, v38, s64                              // 000000006D40: D1ED0057 01024D27
	v_mfma_f32_16x16x16_f16 v[128:131], v[62:63], a[76:77], v[128:131]// 000000006D48: D3CD0080 1602993E
	ds_read_b128 a[156:159], v10 offset:2688                   // 000000006D50: DBFE0A80 9C00000A
	buffer_load_dword v35, v4, s[8:11], 0 idxen                // 000000006D58: E0502000 80022304
	v_mfma_f32_16x16x16_f16 v[128:131], v[64:65], a[80:81], v[128:131]// 000000006D60: D3CD0080 1602A140
	v_perm_b32 v88, v45, v44, s63                              // 000000006D68: D1ED0058 00FE592D
	v_perm_b32 v89, v45, v44, s64                              // 000000006D70: D1ED0059 0102592D
	v_mfma_f32_16x16x16_f16 v[128:131], v[66:67], a[84:85], v[128:131]// 000000006D78: D3CD0080 1602A942
	ds_read_b128 v[92:95], v10 offset:8704                     // 000000006D80: D9FE2200 5C00000A
	buffer_load_dword v40, v1, s[20:23], 0 idxen               // 000000006D88: E0502000 80052801
	v_mfma_f32_16x16x16_f16 v[128:131], v[68:69], a[88:89], v[128:131]// 000000006D90: D3CD0080 1602B144
	v_perm_b32 v90, v47, v46, s63                              // 000000006D98: D1ED005A 00FE5D2F
	v_perm_b32 v91, v47, v46, s64                              // 000000006DA0: D1ED005B 01025D2F
	v_mfma_f32_16x16x16_f16 v[128:131], v[70:71], a[92:93], v[128:131]// 000000006DA8: D3CD0080 1602B946
	ds_read_b128 v[96:99], v10 offset:9216                     // 000000006DB0: D9FE2400 6000000A
	buffer_load_dword v41, v2, s[20:23], 0 idxen               // 000000006DB8: E0502000 80052902
	v_mfma_f32_16x16x16_f16 v[132:135], v[48:49], a[50:51], 0  // 000000006DC0: D3CD0084 12026530
	v_mov_b32_dpp v127, v124 quad_perm:[3,3,3,3] row_mask:0xf bank_mask:0xf// 000000006DC8: 7EFE02FA FF00FF7C
	v_mov_b32_dpp v126, v124 quad_perm:[2,2,2,2] row_mask:0xf bank_mask:0xf// 000000006DD0: 7EFC02FA FF00AA7C
	v_mfma_f32_16x16x16_f16 v[132:135], v[50:51], a[54:55], v[132:135]// 000000006DD8: D3CD0084 16126D32
	ds_read_b128 v[100:103], v10 offset:10880                  // 000000006DE0: D9FE2A80 6400000A
	buffer_load_dword v42, v3, s[20:23], 0 idxen               // 000000006DE8: E0502000 80052A03
	v_mfma_f32_16x16x16_f16 v[132:135], v[52:53], a[58:59], v[132:135]// 000000006DF0: D3CD0084 16127534
	v_mov_b32_dpp v125, v124 quad_perm:[1,1,1,1] row_mask:0xf bank_mask:0xf// 000000006DF8: 7EFA02FA FF00557C
	v_mov_b32_dpp v124, v124 quad_perm:[0,0,0,0] row_mask:0xf bank_mask:0xf// 000000006E00: 7EF802FA FF00007C
	s_add_u32 s60, 64, s59                                     // 000000006E08: 803C3BC0
	v_mfma_f32_16x16x16_f16 v[132:135], v[54:55], a[62:63], v[132:135]// 000000006E0C: D3CD0084 16127D36
	ds_read_b128 v[104:107], v10 offset:11392                  // 000000006E14: D9FE2C80 6800000A
	buffer_load_dword v43, v4, s[20:23], 0 idxen               // 000000006E1C: E0502000 80052B04
	v_mfma_f32_16x16x16_f16 v[132:135], v[56:57], a[66:67], v[132:135]// 000000006E24: D3CD0084 16128538
	s_cmp_lt_u32 s60, s58                                      // 000000006E2C: BF0A3A3C
	s_cselect_b32 s68, s68, 0                                  // 000000006E30: 85448044
	s_cselect_b32 s69, s69, 0                                  // 000000006E34: 85458045
	v_mfma_f32_16x16x16_f16 v[132:135], v[58:59], a[70:71], v[132:135]// 000000006E38: D3CD0084 16128D3A
	buffer_load_dword v9, s[24:27], 0 idxen lds                // 000000006E40: E0512000 80060009
	v_mfma_f32_16x16x16_f16 v[132:135], v[60:61], a[74:75], v[132:135]// 000000006E48: D3CD0084 1612953C
	s_add_u32 s8, s68, s8                                      // 000000006E50: 80080844
	s_addc_u32 s9, 0, s9                                       // 000000006E54: 82090980
	v_mfma_f32_16x16x16_f16 v[132:135], v[62:63], a[78:79], v[132:135]// 000000006E58: D3CD0084 16129D3E
	s_add_u32 s20, s68, s20                                    // 000000006E60: 80141444
	s_addc_u32 s21, 0, s21                                     // 000000006E64: 82151580
	v_mfma_f32_16x16x16_f16 v[132:135], v[64:65], a[82:83], v[132:135]// 000000006E68: D3CD0084 1612A540
	s_mov_b32 m0, s75                                          // 000000006E70: BEFC004B
	v_add_u32_e32 v9, s69, v9                                  // 000000006E74: 68121245
	v_mfma_f32_16x16x16_f16 v[132:135], v[66:67], a[86:87], v[132:135]// 000000006E78: D3CD0084 1612AD42
	s_cmp_ge_u32 s59, 16                                       // 000000006E80: BF09903B
	s_cselect_b32 s66, s67, s66                                // 000000006E84: 85424243
	v_mfma_f32_16x16x16_f16 v[132:135], v[68:69], a[90:91], v[132:135]// 000000006E88: D3CD0084 1612B544
	s_addk_i32 s59, 0x10                                       // 000000006E90: B73B0010
	s_nop 0                                                    // 000000006E94: BF800000
	s_cmp_lt_i32 s59, s58                                      // 000000006E98: BF043A3B
	v_mfma_f32_16x16x16_f16 v[132:135], v[70:71], a[94:95], v[132:135]// 000000006E9C: D3CD0084 1612BD46
	s_cbranch_scc0 label_0C2B                                  // 000000006EA4: BF840001
	s_branch label_0798                                        // 000000006EA8: BF82FB6D

0000000000006eac <label_0C2B>:
	s_nop 0                                                    // 000000006EAC: BF800000
	s_nop 0                                                    // 000000006EB0: BF800000
	s_branch label_10C1                                        // 000000006EB4: BF820493

0000000000006eb8 <label_0C2E>:
	s_waitcnt lgkmcnt(4)                                       // 000000006EB8: BF8CC47F
	s_barrier                                                  // 000000006EBC: BF8A0000
	v_mfma_f32_16x16x16_f16 v[48:51], a[144:145], a[0:1], 0    // 000000006EC0: D3CD0030 1A020190
	v_mul_f32_e32 v128, s48, v128                              // 000000006EC8: 0B010030
	v_mul_f32_e32 v129, s48, v129                              // 000000006ECC: 0B030230
	v_mfma_f32_16x16x16_f16 v[48:51], a[146:147], a[2:3], v[48:51]// 000000006ED0: D3CD0030 1CC20592
	ds_write_b32 v11, v44 offset:8704                          // 000000006ED8: D81A2200 00002C0B
	ds_write_b32 v11, v45 offset:9760                          // 000000006EE0: D81A2620 00002D0B
	v_mfma_f32_16x16x16_f16 v[48:51], a[148:149], a[4:5], v[48:51]// 000000006EE8: D3CD0030 1CC20994
	v_mul_f32_e32 v130, s48, v130                              // 000000006EF0: 0B050430
	v_mul_f32_e32 v131, s48, v131                              // 000000006EF4: 0B070630
	v_mfma_f32_16x16x16_f16 v[48:51], a[150:151], a[6:7], v[48:51]// 000000006EF8: D3CD0030 1CC20D96
	ds_write_b32 v11, v46 offset:8832                          // 000000006F00: D81A2280 00002E0B
	ds_write_b32 v11, v47 offset:9888                          // 000000006F08: D81A26A0 00002F0B
	v_mfma_f32_16x16x16_f16 v[48:51], a[152:153], a[8:9], v[48:51]// 000000006F10: D3CD0030 1CC21198
	v_mul_f32_e32 v132, s48, v132                              // 000000006F18: 0B090830
	v_mul_f32_e32 v133, s48, v133                              // 000000006F1C: 0B0B0A30
	v_mfma_f32_16x16x16_f16 v[48:51], a[154:155], a[10:11], v[48:51]// 000000006F20: D3CD0030 1CC2159A
	ds_write_b64 v20, v[128:129] offset:24320                  // 000000006F28: D89A5F00 00008014
	v_mfma_f32_16x16x16_f16 v[48:51], a[156:157], a[12:13], v[48:51]// 000000006F30: D3CD0030 1CC2199C
	v_mul_f32_e32 v134, s48, v134                              // 000000006F38: 0B0D0C30
	v_mul_f32_e32 v135, s48, v135                              // 000000006F3C: 0B0F0E30
	v_mfma_f32_16x16x16_f16 v[48:51], a[158:159], a[14:15], v[48:51]// 000000006F40: D3CD0030 1CC21D9E
	ds_write_b64 v20, v[130:131] offset:24832                  // 000000006F48: D89A6100 00008214
	v_mfma_f32_16x16x16_f16 v[52:55], a[144:145], a[16:17], 0  // 000000006F50: D3CD0034 1A022190
	buffer_atomic_add_f32 v140, v7, s[32:35], 0 idxen offset:256// 000000006F58: E1342100 80088C07
	v_mfma_f32_16x16x16_f16 v[52:55], a[146:147], a[18:19], v[52:55]// 000000006F60: D3CD0034 1CD22592
	ds_write_b64 v20, v[132:133] offset:25344                  // 000000006F68: D89A6300 00008414
	v_mfma_f32_16x16x16_f16 v[52:55], a[148:149], a[20:21], v[52:55]// 000000006F70: D3CD0034 1CD22994
	v_mfma_f32_16x16x16_f16 v[52:55], a[150:151], a[22:23], v[52:55]// 000000006F78: D3CD0034 1CD22D96
	ds_write_b64 v20, v[134:135] offset:25856                  // 000000006F80: D89A6500 00008614
	v_mfma_f32_16x16x16_f16 v[52:55], a[152:153], a[24:25], v[52:55]// 000000006F88: D3CD0034 1CD23198
	buffer_atomic_add_f32 v141, v8, s[32:35], 0 idxen offset:256// 000000006F90: E1342100 80088D08
	v_mfma_f32_16x16x16_f16 v[52:55], a[154:155], a[26:27], v[52:55]// 000000006F98: D3CD0034 1CD2359A
	ds_read_b128 v[108:111], v12 offset:13056                  // 000000006FA0: D9FE3300 6C00000C
	ds_write_b32 v11, v36                                      // 000000006FA8: D81A0000 0000240B
	v_mfma_f32_16x16x16_f16 v[52:55], a[156:157], a[28:29], v[52:55]// 000000006FB0: D3CD0034 1CD2399C
	v_mfma_f32_16x16x16_f16 v[52:55], a[158:159], a[30:31], v[52:55]// 000000006FB8: D3CD0034 1CD23D9E
	v_mfma_f32_16x16x16_f16 v[56:59], a[144:145], a[32:33], 0  // 000000006FC0: D3CD0038 1A024190
	ds_read_b128 v[112:115], v12 offset:13568                  // 000000006FC8: D9FE3500 7000000C
	ds_write_b32 v11, v37 offset:1056                          // 000000006FD0: D81A0420 0000250B
	v_mfma_f32_16x16x16_f16 v[56:59], a[146:147], a[34:35], v[56:59]// 000000006FD8: D3CD0038 1CE24592
	buffer_atomic_add_f32 v142, v7, s[32:35], 0 idxen offset:384// 000000006FE0: E1342180 80088E07
	v_mfma_f32_16x16x16_f16 v[56:59], a[148:149], a[36:37], v[56:59]// 000000006FE8: D3CD0038 1CE24994
	v_mfma_f32_16x16x16_f16 v[56:59], a[150:151], a[38:39], v[56:59]// 000000006FF0: D3CD0038 1CE24D96
	ds_read_b128 v[116:119], v12 offset:15232                  // 000000006FF8: D9FE3B80 7400000C
	ds_write_b32 v11, v38 offset:128                           // 000000007000: D81A0080 0000260B
	v_mfma_f32_16x16x16_f16 v[56:59], a[152:153], a[40:41], v[56:59]// 000000007008: D3CD0038 1CE25198
	v_mfma_f32_16x16x16_f16 v[56:59], a[154:155], a[42:43], v[56:59]// 000000007010: D3CD0038 1CE2559A
	buffer_atomic_add_f32 v143, v8, s[32:35], 0 idxen offset:384// 000000007018: E1342180 80088F08
	v_mfma_f32_16x16x16_f16 v[56:59], a[156:157], a[44:45], v[56:59]// 000000007020: D3CD0038 1CE2599C
	ds_read_b128 v[120:123], v12 offset:15744                  // 000000007028: D9FE3D80 7800000C
	ds_write_b32 v11, v39 offset:1184                          // 000000007030: D81A04A0 0000270B
	v_mfma_f32_16x16x16_f16 v[56:59], a[158:159], a[46:47], v[56:59]// 000000007038: D3CD0038 1CE25D9E
	s_cmp_lt_i32 s73, 3                                        // 000000007040: BF048349
	s_cbranch_scc0 label_0CA1                                  // 000000007044: BF84000F
	s_cmp_eq_i32 s73, 1                                        // 000000007048: BF008149
	s_cbranch_scc1 label_0C97                                  // 00000000704C: BF850003
	s_cmp_eq_i32 s73, 2                                        // 000000007050: BF008249
	s_cbranch_scc1 label_0C9C                                  // 000000007054: BF850006
	s_branch label_0CA1                                        // 000000007058: BF82000A

000000000000705c <label_0C97>:
	v_mov_b32_e32 v52, v151                                    // 00000000705C: 7E680397
	v_mov_b32_e32 v53, v151                                    // 000000007060: 7E6A0397
	v_mov_b32_e32 v54, v151                                    // 000000007064: 7E6C0397
	v_mov_b32_e32 v55, v151                                    // 000000007068: 7E6E0397
	s_branch label_0C9C                                        // 00000000706C: BF820000

0000000000007070 <label_0C9C>:
	v_mov_b32_e32 v56, v151                                    // 000000007070: 7E700397
	v_mov_b32_e32 v57, v151                                    // 000000007074: 7E720397
	v_mov_b32_e32 v58, v151                                    // 000000007078: 7E740397
	v_mov_b32_e32 v59, v151                                    // 00000000707C: 7E760397
	s_branch label_0CA1                                        // 000000007080: BF820000

0000000000007084 <label_0CA1>:
	s_waitcnt lgkmcnt(8)                                       // 000000007084: BF8CC87F
	s_barrier                                                  // 000000007088: BF8A0000
	v_mfma_f32_16x16x16_f16 v[72:75], v[92:93], a[96:97], 0    // 00000000708C: D3CD0048 1202C15C
	v_fma_f32 v48, v48, s57, -v124                             // 000000007094: D1CB0030 85F07330
	v_fma_f32 v49, v49, s57, -v125                             // 00000000709C: D1CB0031 85F47331
	v_fma_f32 v50, v50, s57, -v126                             // 0000000070A4: D1CB0032 85F87332
	v_mfma_f32_16x16x16_f16 v[72:75], v[94:95], a[98:99], v[72:75]// 0000000070AC: D3CD0048 1522C55E
	ds_read_b128 a[144:147], v12 offset:4352                   // 0000000070B4: DBFE1100 9000000C
	ds_read_b128 a[148:151], v12 offset:4864                   // 0000000070BC: DBFE1300 9400000C
	v_mfma_f32_16x16x16_f16 v[72:75], v[96:97], a[100:101], v[72:75]// 0000000070C4: D3CD0048 1522C960
	v_fma_f32 v51, v51, s57, -v127                             // 0000000070CC: D1CB0033 85FC7333
	v_fma_f32 v52, v52, s57, -v124                             // 0000000070D4: D1CB0034 85F07334
	v_fma_f32 v53, v53, s57, -v125                             // 0000000070DC: D1CB0035 85F47335
	v_mfma_f32_16x16x16_f16 v[72:75], v[98:99], a[102:103], v[72:75]// 0000000070E4: D3CD0048 1522CD62
	v_fma_f32 v54, v54, s57, -v126                             // 0000000070EC: D1CB0036 85F87336
	v_fma_f32 v55, v55, s57, -v127                             // 0000000070F4: D1CB0037 85FC7337
	v_fma_f32 v56, v56, s57, -v124                             // 0000000070FC: D1CB0038 85F07338
	v_mfma_f32_16x16x16_f16 v[72:75], v[100:101], a[104:105], v[72:75]// 000000007104: D3CD0048 1522D164
	v_fma_f32 v57, v57, s57, -v125                             // 00000000710C: D1CB0039 85F47339
	v_fma_f32 v58, v58, s57, -v126                             // 000000007114: D1CB003A 85F8733A
	v_fma_f32 v59, v59, s57, -v127                             // 00000000711C: D1CB003B 85FC733B
	v_mfma_f32_16x16x16_f16 v[72:75], v[102:103], a[106:107], v[72:75]// 000000007124: D3CD0048 1522D566
	ds_read_b128 a[152:155], v12 offset:6528                   // 00000000712C: DBFE1980 9800000C
	ds_read_b128 a[156:159], v12 offset:7040                   // 000000007134: DBFE1B80 9C00000C
	v_mfma_f32_16x16x16_f16 v[72:75], v[104:105], a[108:109], v[72:75]// 00000000713C: D3CD0048 1522D968
	v_exp_f32_e32 v48, v48                                     // 000000007144: 7E604130
	v_mfma_f32_16x16x16_f16 v[72:75], v[106:107], a[110:111], v[72:75]// 000000007148: D3CD0048 1522DD6A
	v_exp_f32_e32 v49, v49                                     // 000000007150: 7E624131
	v_mfma_f32_16x16x16_f16 v[76:79], v[92:93], a[112:113], 0  // 000000007154: D3CD004C 1202E15C
	v_exp_f32_e32 v50, v50                                     // 00000000715C: 7E644132
	v_mfma_f32_16x16x16_f16 v[76:79], v[94:95], a[114:115], v[76:79]// 000000007160: D3CD004C 1532E55E
	ds_read_b64 v[136:137], v19 offset:24320                   // 000000007168: D8EC5F00 88000013
	ds_read_b64 v[138:139], v19 offset:26368                   // 000000007170: D8EC6700 8A000013
	v_mfma_f32_16x16x16_f16 v[76:79], v[96:97], a[116:117], v[76:79]// 000000007178: D3CD004C 1532E960
	v_exp_f32_e32 v51, v51                                     // 000000007180: 7E664133
	v_mfma_f32_16x16x16_f16 v[76:79], v[98:99], a[118:119], v[76:79]// 000000007184: D3CD004C 1532ED62
	ds_read_b64 v[140:141], v19 offset:28416                   // 00000000718C: D8EC6F00 8C000013
	ds_read_b64 v[142:143], v19 offset:30464                   // 000000007194: D8EC7700 8E000013
	v_mfma_f32_16x16x16_f16 v[76:79], v[100:101], a[120:121], v[76:79]// 00000000719C: D3CD004C 1532F164
	v_exp_f32_e32 v52, v52                                     // 0000000071A4: 7E684134
	v_mfma_f32_16x16x16_f16 v[76:79], v[102:103], a[122:123], v[76:79]// 0000000071A8: D3CD004C 1532F566
	v_exp_f32_e32 v53, v53                                     // 0000000071B0: 7E6A4135
	v_mfma_f32_16x16x16_f16 v[76:79], v[104:105], a[124:125], v[76:79]// 0000000071B4: D3CD004C 1532F968
	v_exp_f32_e32 v54, v54                                     // 0000000071BC: 7E6C4136
	v_mfma_f32_16x16x16_f16 v[76:79], v[106:107], a[126:127], v[76:79]// 0000000071C0: D3CD004C 1532FD6A
	v_exp_f32_e32 v55, v55                                     // 0000000071C8: 7E6E4137
	v_mfma_f32_16x16x16_f16 v[80:83], v[92:93], a[128:129], 0  // 0000000071CC: D3CD0050 1203015C
	v_exp_f32_e32 v56, v56                                     // 0000000071D4: 7E704138
	v_mfma_f32_16x16x16_f16 v[80:83], v[94:95], a[130:131], v[80:83]// 0000000071D8: D3CD0050 1543055E
	v_exp_f32_e32 v57, v57                                     // 0000000071E0: 7E724139
	v_mfma_f32_16x16x16_f16 v[80:83], v[96:97], a[132:133], v[80:83]// 0000000071E4: D3CD0050 15430960
	v_exp_f32_e32 v58, v58                                     // 0000000071EC: 7E74413A
	v_mfma_f32_16x16x16_f16 v[80:83], v[98:99], a[134:135], v[80:83]// 0000000071F0: D3CD0050 15430D62
	v_exp_f32_e32 v59, v59                                     // 0000000071F8: 7E76413B
	v_mfma_f32_16x16x16_f16 v[80:83], v[100:101], a[136:137], v[80:83]// 0000000071FC: D3CD0050 15431164
	v_cvt_pkrtz_f16_f32 v144, v48, v49                         // 000000007204: D2960090 00026330
	v_cvt_pkrtz_f16_f32 v145, v50, v51                         // 00000000720C: D2960091 00026732
	v_cvt_pkrtz_f16_f32 v146, v52, v53                         // 000000007214: D2960092 00026B34
	v_mfma_f32_16x16x16_f16 v[80:83], v[102:103], a[138:139], v[80:83]// 00000000721C: D3CD0050 15431566
	v_cvt_pkrtz_f16_f32 v147, v54, v55                         // 000000007224: D2960093 00026F36
	v_cvt_pkrtz_f16_f32 v148, v56, v57                         // 00000000722C: D2960094 00027338
	v_cvt_pkrtz_f16_f32 v149, v58, v59                         // 000000007234: D2960095 0002773A
	v_mfma_f32_16x16x16_f16 v[80:83], v[104:105], a[140:141], v[80:83]// 00000000723C: D3CD0050 15431968
	s_add_u32 s32, s66, s32                                    // 000000007244: 80202042
	s_addc_u32 s33, 0, s33                                     // 000000007248: 82212180
	v_mfma_f32_16x16x16_f16 v[80:83], v[106:107], a[142:143], v[80:83]// 00000000724C: D3CD0050 15431D6A
	s_waitcnt lgkmcnt(0)                                       // 000000007254: BF8CC07F
	s_barrier                                                  // 000000007258: BF8A0000
	v_mfma_f32_16x16x16_f16 v[152:155], v[108:109], v[144:145], v[152:155]// 00000000725C: D3CD0098 0663216C
	v_subrev_f32_dpp v72, v150, v72 quad_perm:[0,0,0,0] row_mask:0xf bank_mask:0xf// 000000007264: 069090FA FF000096
	v_subrev_f32_dpp v73, v150, v73 quad_perm:[1,1,1,1] row_mask:0xf bank_mask:0xf// 00000000726C: 069292FA FF005596
	v_subrev_f32_dpp v74, v150, v74 quad_perm:[2,2,2,2] row_mask:0xf bank_mask:0xf// 000000007274: 069494FA FF00AA96
	v_mfma_f32_16x16x16_f16 v[156:159], v[110:111], v[144:145], v[156:159]// 00000000727C: D3CD009C 0673216E
	v_subrev_f32_dpp v75, v150, v75 quad_perm:[3,3,3,3] row_mask:0xf bank_mask:0xf// 000000007284: 069696FA FF00FF96
	v_subrev_f32_dpp v76, v150, v76 quad_perm:[0,0,0,0] row_mask:0xf bank_mask:0xf// 00000000728C: 069898FA FF000096
	v_subrev_f32_dpp v77, v150, v77 quad_perm:[1,1,1,1] row_mask:0xf bank_mask:0xf// 000000007294: 069A9AFA FF005596
	v_mfma_f32_16x16x16_f16 v[160:163], v[112:113], v[144:145], v[160:163]// 00000000729C: D3CD00A0 06832170
	v_mul_f32_e32 v72, v48, v72                                // 0000000072A4: 0A909130
	v_mul_f32_e32 v73, v49, v73                                // 0000000072A8: 0A929331
	v_mul_f32_e32 v74, v50, v74                                // 0000000072AC: 0A949532
	v_mfma_f32_16x16x16_f16 v[164:167], v[114:115], v[144:145], v[164:167]// 0000000072B0: D3CD00A4 06932172
	v_mul_f32_e32 v75, v51, v75                                // 0000000072B8: 0A969733
	v_mul_f32_e32 v76, v52, v76                                // 0000000072BC: 0A989934
	v_mul_f32_e32 v77, v53, v77                                // 0000000072C0: 0A9A9B35
	v_mfma_f32_16x16x16_f16 v[168:171], v[116:117], v[144:145], v[168:171]// 0000000072C4: D3CD00A8 06A32174
	v_cvt_pkrtz_f16_f32 v72, v72, v73                          // 0000000072CC: D2960048 00029348
	v_cvt_pkrtz_f16_f32 v73, v74, v75                          // 0000000072D4: D2960049 0002974A
	v_cvt_pkrtz_f16_f32 v74, v76, v77                          // 0000000072DC: D296004A 00029B4C
	v_mfma_f32_16x16x16_f16 v[172:175], v[118:119], v[144:145], v[172:175]// 0000000072E4: D3CD00AC 06B32176
	v_mov_b32_dpp v16, v72 quad_perm:[1,0,3,2] row_mask:0xf bank_mask:0xf// 0000000072EC: 7E2002FA FF00B148
	v_perm_b32 v48, v16, v72, v15                              // 0000000072F4: D1ED0030 043E9110
	v_mov_b32_dpp v16, v73 quad_perm:[1,0,3,2] row_mask:0xf bank_mask:0xf// 0000000072FC: 7E2002FA FF00B149
	v_mfma_f32_16x16x16_f16 v[176:179], v[120:121], v[144:145], v[176:179]// 000000007304: D3CD00B0 06C32178
	ds_write_b32 v18, v48 offset:17408                         // 00000000730C: D81A4400 00003012
	v_mfma_f32_16x16x16_f16 v[180:183], v[122:123], v[144:145], v[180:183]// 000000007314: D3CD00B4 06D3217A
	v_perm_b32 v49, v16, v73, v15                              // 00000000731C: D1ED0031 043E9310
	v_mov_b32_dpp v16, v74 quad_perm:[1,0,3,2] row_mask:0xf bank_mask:0xf// 000000007324: 7E2002FA FF00B14A
	v_perm_b32 v50, v16, v74, v15                              // 00000000732C: D1ED0032 043E9510
	v_mfma_f32_16x16x16_f16 v[184:187], v[108:109], v[146:147], v[184:187]// 000000007334: D3CD00B8 06E3256C
	ds_write_b32 v18, v49 offset:17952                         // 00000000733C: D81A4620 00003112
	v_mfma_f32_16x16x16_f16 v[188:191], v[110:111], v[146:147], v[188:191]// 000000007344: D3CD00BC 06F3256E
	v_subrev_f32_dpp v78, v150, v78 quad_perm:[2,2,2,2] row_mask:0xf bank_mask:0xf// 00000000734C: 069C9CFA FF00AA96
	v_subrev_f32_dpp v79, v150, v79 quad_perm:[3,3,3,3] row_mask:0xf bank_mask:0xf// 000000007354: 069E9EFA FF00FF96
	v_subrev_f32_dpp v80, v150, v80 quad_perm:[0,0,0,0] row_mask:0xf bank_mask:0xf// 00000000735C: 06A0A0FA FF000096
	v_mfma_f32_16x16x16_f16 v[192:195], v[112:113], v[146:147], v[192:195]// 000000007364: D3CD00C0 07032570
	ds_write_b32 v18, v50 offset:19712                         // 00000000736C: D81A4D00 00003212
	v_mfma_f32_16x16x16_f16 v[196:199], v[114:115], v[146:147], v[196:199]// 000000007374: D3CD00C4 07132572
	v_subrev_f32_dpp v81, v150, v81 quad_perm:[1,1,1,1] row_mask:0xf bank_mask:0xf// 00000000737C: 06A2A2FA FF005596
	v_subrev_f32_dpp v82, v150, v82 quad_perm:[2,2,2,2] row_mask:0xf bank_mask:0xf// 000000007384: 06A4A4FA FF00AA96
	v_subrev_f32_dpp v83, v150, v83 quad_perm:[3,3,3,3] row_mask:0xf bank_mask:0xf// 00000000738C: 06A6A6FA FF00FF96
	v_mfma_f32_16x16x16_f16 v[200:203], v[116:117], v[146:147], v[200:203]// 000000007394: D3CD00C8 07232574
	v_mul_f32_e32 v78, v54, v78                                // 00000000739C: 0A9C9D36
	v_mul_f32_e32 v79, v55, v79                                // 0000000073A0: 0A9E9F37
	v_mul_f32_e32 v80, v56, v80                                // 0000000073A4: 0AA0A138
	v_mfma_f32_16x16x16_f16 v[204:207], v[118:119], v[146:147], v[204:207]// 0000000073A8: D3CD00CC 07332576
	v_mul_f32_e32 v81, v57, v81                                // 0000000073B0: 0AA2A339
	v_mul_f32_e32 v82, v58, v82                                // 0000000073B4: 0AA4A53A
	v_mul_f32_e32 v83, v59, v83                                // 0000000073B8: 0AA6A73B
	v_mfma_f32_16x16x16_f16 v[208:211], v[120:121], v[146:147], v[208:211]// 0000000073BC: D3CD00D0 07432578
	v_cvt_pkrtz_f16_f32 v75, v78, v79                          // 0000000073C4: D296004B 00029F4E
	v_cvt_pkrtz_f16_f32 v76, v80, v81                          // 0000000073CC: D296004C 0002A350
	v_cvt_pkrtz_f16_f32 v77, v82, v83                          // 0000000073D4: D296004D 0002A752
	v_mfma_f32_16x16x16_f16 v[212:215], v[122:123], v[146:147], v[212:215]// 0000000073DC: D3CD00D4 0753257A
	v_mov_b32_dpp v16, v75 quad_perm:[1,0,3,2] row_mask:0xf bank_mask:0xf// 0000000073E4: 7E2002FA FF00B14B
	v_perm_b32 v51, v16, v75, v15                              // 0000000073EC: D1ED0033 043E9710
	v_mov_b32_dpp v16, v76 quad_perm:[1,0,3,2] row_mask:0xf bank_mask:0xf// 0000000073F4: 7E2002FA FF00B14C
	v_mfma_f32_16x16x16_f16 v[216:219], v[108:109], v[148:149], v[216:219]// 0000000073FC: D3CD00D8 0763296C
	ds_write_b32 v18, v51 offset:20256                         // 000000007404: D81A4F20 00003312
	v_mfma_f32_16x16x16_f16 v[220:223], v[110:111], v[148:149], v[220:223]// 00000000740C: D3CD00DC 0773296E
	v_perm_b32 v52, v16, v76, v15                              // 000000007414: D1ED0034 043E9910
	v_mov_b32_dpp v16, v77 quad_perm:[1,0,3,2] row_mask:0xf bank_mask:0xf// 00000000741C: 7E2002FA FF00B14D
	v_perm_b32 v53, v16, v77, v15                              // 000000007424: D1ED0035 043E9B10
	v_mfma_f32_16x16x16_f16 v[224:227], v[112:113], v[148:149], v[224:227]// 00000000742C: D3CD00E0 07832970
	ds_write_b32 v18, v52 offset:22016                         // 000000007434: D81A5600 00003412
	ds_write_b32 v18, v53 offset:22560                         // 00000000743C: D81A5820 00003512
	v_mfma_f32_16x16x16_f16 v[228:231], v[114:115], v[148:149], v[228:231]// 000000007444: D3CD00E4 07932972
	v_mfma_f32_16x16x16_f16 v[232:235], v[116:117], v[148:149], v[232:235]// 00000000744C: D3CD00E8 07A32974
	ds_write_b32 v13, v84 offset:4352                          // 000000007454: D81A1100 0000540D
	ds_write_b32 v13, v85 offset:5408                          // 00000000745C: D81A1520 0000550D
	v_mfma_f32_16x16x16_f16 v[236:239], v[118:119], v[148:149], v[236:239]// 000000007464: D3CD00EC 07B32976
	v_mfma_f32_16x16x16_f16 v[240:243], v[120:121], v[148:149], v[240:243]// 00000000746C: D3CD00F0 07C32978
	ds_write_b32 v13, v86 offset:4480                          // 000000007474: D81A1180 0000560D
	ds_write_b32 v13, v87 offset:5536                          // 00000000747C: D81A15A0 0000570D
	v_mfma_f32_16x16x16_f16 v[244:247], v[122:123], v[148:149], v[244:247]// 000000007484: D3CD00F4 07D3297A
	s_nop 0                                                    // 00000000748C: BF800000
	s_nop 0                                                    // 000000007490: BF800000
	s_nop 0                                                    // 000000007494: BF800000
	s_barrier                                                  // 000000007498: BF8A0000
	v_mfma_f32_16x16x16_f16 a[160:163], a[144:145], v[72:73], a[160:163]// 00000000749C: D3CD80A0 0E829190
	ds_read_b32 v124, v21 offset:51200                         // 0000000074A4: D86CC800 7C000015
	ds_read_b32 v150, v21 offset:51456                         // 0000000074AC: D86CC900 96000015
	v_mfma_f32_16x16x16_f16 a[164:167], a[146:147], v[72:73], a[164:167]// 0000000074B4: D3CD80A4 0E929192
	buffer_atomic_add_f32 v136, v7, s[32:35], 0 idxen          // 0000000074BC: E1342000 80088807
	v_mfma_f32_16x16x16_f16 a[168:171], a[148:149], v[72:73], a[168:171]// 0000000074C4: D3CD80A8 0EA29194
	s_waitcnt lgkmcnt(6)                                       // 0000000074CC: BF8CC67F
	s_barrier                                                  // 0000000074D0: BF8A0000
	v_mfma_f32_16x16x16_f16 a[172:175], a[150:151], v[72:73], a[172:175]// 0000000074D4: D3CD80AC 0EB29196
	v_mfma_f32_16x16x16_f16 a[176:179], a[152:153], v[72:73], a[176:179]// 0000000074DC: D3CD80B0 0EC29198
	ds_read_b128 v[48:51], v17 offset:17408                    // 0000000074E4: D9FE4400 30000011
	v_mfma_f32_16x16x16_f16 a[180:183], a[154:155], v[72:73], a[180:183]// 0000000074EC: D3CD80B4 0ED2919A
	v_mfma_f32_16x16x16_f16 a[184:187], a[156:157], v[72:73], a[184:187]// 0000000074F4: D3CD80B8 0EE2919C
	ds_read_b128 v[52:55], v17 offset:18560                    // 0000000074FC: D9FE4880 34000011
	v_mfma_f32_16x16x16_f16 a[188:191], a[158:159], v[72:73], a[188:191]// 000000007504: D3CD80BC 0EF2919E
	buffer_atomic_add_f32 v137, v8, s[32:35], 0 idxen          // 00000000750C: E1342000 80088908
	v_mfma_f32_16x16x16_f16 a[192:195], a[144:145], v[74:75], a[192:195]// 000000007514: D3CD80C0 0F029590
	ds_read_b128 v[56:59], v17 offset:19712                    // 00000000751C: D9FE4D00 38000011
	v_mfma_f32_16x16x16_f16 a[196:199], a[146:147], v[74:75], a[196:199]// 000000007524: D3CD80C4 0F129592
	v_mfma_f32_16x16x16_f16 a[200:203], a[148:149], v[74:75], a[200:203]// 00000000752C: D3CD80C8 0F229594
	ds_read_b128 v[60:63], v17 offset:20864                    // 000000007534: D9FE5180 3C000011
	v_mfma_f32_16x16x16_f16 a[204:207], a[150:151], v[74:75], a[204:207]// 00000000753C: D3CD80CC 0F329596
	v_mfma_f32_16x16x16_f16 a[208:211], a[152:153], v[74:75], a[208:211]// 000000007544: D3CD80D0 0F429598
	ds_read_b128 v[64:67], v17 offset:22016                    // 00000000754C: D9FE5600 40000011
	v_mfma_f32_16x16x16_f16 a[212:215], a[154:155], v[74:75], a[212:215]// 000000007554: D3CD80D4 0F52959A
	buffer_atomic_add_f32 v138, v7, s[32:35], 0 idxen offset:128// 00000000755C: E1342080 80088A07
	v_mfma_f32_16x16x16_f16 a[216:219], a[156:157], v[74:75], a[216:219]// 000000007564: D3CD80D8 0F62959C
	ds_read_b128 v[68:71], v17 offset:23168                    // 00000000756C: D9FE5A80 44000011
	v_mfma_f32_16x16x16_f16 a[220:223], a[158:159], v[74:75], a[220:223]// 000000007574: D3CD80DC 0F72959E
	v_mfma_f32_16x16x16_f16 a[224:227], a[144:145], v[76:77], a[224:227]// 00000000757C: D3CD80E0 0F829990
	ds_write_b32 v13, v88 offset:13056                         // 000000007584: D81A3300 0000580D
	v_mfma_f32_16x16x16_f16 a[228:231], a[146:147], v[76:77], a[228:231]// 00000000758C: D3CD80E4 0F929992
	v_mfma_f32_16x16x16_f16 a[232:235], a[148:149], v[76:77], a[232:235]// 000000007594: D3CD80E8 0FA29994
	ds_write_b32 v13, v89 offset:14112                         // 00000000759C: D81A3720 0000590D
	v_mfma_f32_16x16x16_f16 a[236:239], a[150:151], v[76:77], a[236:239]// 0000000075A4: D3CD80EC 0FB29996
	buffer_atomic_add_f32 v139, v8, s[32:35], 0 idxen offset:128// 0000000075AC: E1342080 80088B08
	v_mfma_f32_16x16x16_f16 a[240:243], a[152:153], v[76:77], a[240:243]// 0000000075B4: D3CD80F0 0FC29998
	ds_write_b32 v13, v90 offset:13184                         // 0000000075BC: D81A3380 00005A0D
	v_mfma_f32_16x16x16_f16 a[244:247], a[154:155], v[76:77], a[244:247]// 0000000075C4: D3CD80F4 0FD2999A
	v_mfma_f32_16x16x16_f16 a[248:251], a[156:157], v[76:77], a[248:251]// 0000000075CC: D3CD80F8 0FE2999C
	ds_write_b32 v13, v91 offset:14240                         // 0000000075D4: D81A37A0 00005B0D
	v_mfma_f32_16x16x16_f16 a[252:255], a[158:159], v[76:77], a[252:255]// 0000000075DC: D3CD80FC 0FF2999E
	s_waitcnt vmcnt(8) lgkmcnt(4)                              // 0000000075E4: BF8C0478
	s_barrier                                                  // 0000000075E8: BF8A0000
	v_mfma_f32_16x16x16_f16 v[128:131], v[48:49], a[48:49], 0  // 0000000075EC: D3CD0080 12026130
	ds_read_b128 a[144:147], v10                               // 0000000075F4: DBFE0000 9000000A
	buffer_load_dword v36, v1, s[8:11], 0 idxen                // 0000000075FC: E0502000 80022401
	v_mfma_f32_16x16x16_f16 v[128:131], v[50:51], a[52:53], v[128:131]// 000000007604: D3CD0080 16026932
	v_mul_f32_e32 v124, s49, v124                              // 00000000760C: 0AF8F831
	s_nop 0                                                    // 000000007610: BF800000
	v_mfma_f32_16x16x16_f16 v[128:131], v[52:53], a[56:57], v[128:131]// 000000007614: D3CD0080 16027134
	ds_read_b128 a[148:151], v10 offset:512                    // 00000000761C: DBFE0200 9400000A
	buffer_load_dword v37, v2, s[8:11], 0 idxen                // 000000007624: E0502000 80022502
	v_mfma_f32_16x16x16_f16 v[128:131], v[54:55], a[60:61], v[128:131]// 00000000762C: D3CD0080 16027936
	v_mfma_f32_16x16x16_f16 v[128:131], v[56:57], a[64:65], v[128:131]// 000000007634: D3CD0080 16028138
	ds_read_b128 a[152:155], v10 offset:2176                   // 00000000763C: DBFE0880 9800000A
	buffer_load_dword v38, v3, s[8:11], 0 idxen                // 000000007644: E0502000 80022603
	v_mfma_f32_16x16x16_f16 v[128:131], v[58:59], a[68:69], v[128:131]// 00000000764C: D3CD0080 1602893A
	v_perm_b32 v84, v33, v32, s63                              // 000000007654: D1ED0054 00FE4121
	v_perm_b32 v85, v33, v32, s64                              // 00000000765C: D1ED0055 01024121
	v_mfma_f32_16x16x16_f16 v[128:131], v[60:61], a[72:73], v[128:131]// 000000007664: D3CD0080 1602913C
	ds_read_b128 a[156:159], v10 offset:2688                   // 00000000766C: DBFE0A80 9C00000A
	buffer_load_dword v39, v4, s[8:11], 0 idxen                // 000000007674: E0502000 80022704
	v_mfma_f32_16x16x16_f16 v[128:131], v[62:63], a[76:77], v[128:131]// 00000000767C: D3CD0080 1602993E
	v_perm_b32 v86, v35, v34, s63                              // 000000007684: D1ED0056 00FE4523
	v_perm_b32 v87, v35, v34, s64                              // 00000000768C: D1ED0057 01024523
	v_mfma_f32_16x16x16_f16 v[128:131], v[64:65], a[80:81], v[128:131]// 000000007694: D3CD0080 1602A140
	ds_read_b128 v[92:95], v10 offset:8704                     // 00000000769C: D9FE2200 5C00000A
	buffer_load_dword v44, v1, s[20:23], 0 idxen               // 0000000076A4: E0502000 80052C01
	v_mfma_f32_16x16x16_f16 v[128:131], v[66:67], a[84:85], v[128:131]// 0000000076AC: D3CD0080 1602A942
	v_perm_b32 v88, v41, v40, s63                              // 0000000076B4: D1ED0058 00FE5129
	v_perm_b32 v89, v41, v40, s64                              // 0000000076BC: D1ED0059 01025129
	v_mfma_f32_16x16x16_f16 v[128:131], v[68:69], a[88:89], v[128:131]// 0000000076C4: D3CD0080 1602B144
	ds_read_b128 v[96:99], v10 offset:9216                     // 0000000076CC: D9FE2400 6000000A
	buffer_load_dword v45, v2, s[20:23], 0 idxen               // 0000000076D4: E0502000 80052D02
	v_mfma_f32_16x16x16_f16 v[128:131], v[70:71], a[92:93], v[128:131]// 0000000076DC: D3CD0080 1602B946
	v_perm_b32 v90, v43, v42, s63                              // 0000000076E4: D1ED005A 00FE552B
	v_perm_b32 v91, v43, v42, s64                              // 0000000076EC: D1ED005B 0102552B
	v_mfma_f32_16x16x16_f16 v[132:135], v[48:49], a[50:51], 0  // 0000000076F4: D3CD0084 12026530
	ds_read_b128 v[100:103], v10 offset:10880                  // 0000000076FC: D9FE2A80 6400000A
	buffer_load_dword v46, v3, s[20:23], 0 idxen               // 000000007704: E0502000 80052E03
	v_mfma_f32_16x16x16_f16 v[132:135], v[50:51], a[54:55], v[132:135]// 00000000770C: D3CD0084 16126D32
	v_mov_b32_dpp v127, v124 quad_perm:[3,3,3,3] row_mask:0xf bank_mask:0xf// 000000007714: 7EFE02FA FF00FF7C
	v_mov_b32_dpp v126, v124 quad_perm:[2,2,2,2] row_mask:0xf bank_mask:0xf// 00000000771C: 7EFC02FA FF00AA7C
	v_mfma_f32_16x16x16_f16 v[132:135], v[52:53], a[58:59], v[132:135]// 000000007724: D3CD0084 16127534
	ds_read_b128 v[104:107], v10 offset:11392                  // 00000000772C: D9FE2C80 6800000A
	buffer_load_dword v47, v4, s[20:23], 0 idxen               // 000000007734: E0502000 80052F04
	v_mfma_f32_16x16x16_f16 v[132:135], v[54:55], a[62:63], v[132:135]// 00000000773C: D3CD0084 16127D36
	v_mov_b32_dpp v125, v124 quad_perm:[1,1,1,1] row_mask:0xf bank_mask:0xf// 000000007744: 7EFA02FA FF00557C
	v_mov_b32_dpp v124, v124 quad_perm:[0,0,0,0] row_mask:0xf bank_mask:0xf// 00000000774C: 7EF802FA FF00007C
	s_add_u32 s60, 64, s59                                     // 000000007754: 803C3BC0
	v_mfma_f32_16x16x16_f16 v[132:135], v[56:57], a[66:67], v[132:135]// 000000007758: D3CD0084 16128538
	buffer_load_dword v9, s[24:27], 0 idxen lds                // 000000007760: E0512000 80060009
	v_mfma_f32_16x16x16_f16 v[132:135], v[58:59], a[70:71], v[132:135]// 000000007768: D3CD0084 16128D3A
	s_cmp_lt_u32 s60, s58                                      // 000000007770: BF0A3A3C
	s_cselect_b32 s68, s68, 0                                  // 000000007774: 85448044
	s_cselect_b32 s69, s69, 0                                  // 000000007778: 85458045
	v_mfma_f32_16x16x16_f16 v[132:135], v[60:61], a[74:75], v[132:135]// 00000000777C: D3CD0084 1612953C
	s_add_u32 s8, s68, s8                                      // 000000007784: 80080844
	s_addc_u32 s9, 0, s9                                       // 000000007788: 82090980
	v_mfma_f32_16x16x16_f16 v[132:135], v[62:63], a[78:79], v[132:135]// 00000000778C: D3CD0084 16129D3E
	s_add_u32 s20, s68, s20                                    // 000000007794: 80141444
	s_addc_u32 s21, 0, s21                                     // 000000007798: 82151580
	v_mfma_f32_16x16x16_f16 v[132:135], v[64:65], a[82:83], v[132:135]// 00000000779C: D3CD0084 1612A540
	s_mov_b32 m0, s74                                          // 0000000077A4: BEFC004A
	v_add_u32_e32 v9, s69, v9                                  // 0000000077A8: 68121245
	v_mfma_f32_16x16x16_f16 v[132:135], v[66:67], a[86:87], v[132:135]// 0000000077AC: D3CD0084 1612AD42
	s_cmp_ge_u32 s59, 16                                       // 0000000077B4: BF09903B
	s_cselect_b32 s66, s67, s66                                // 0000000077B8: 85424243
	v_mfma_f32_16x16x16_f16 v[132:135], v[68:69], a[90:91], v[132:135]// 0000000077BC: D3CD0084 1612B544
	s_addk_i32 s59, 0x10                                       // 0000000077C4: B73B0010
	s_nop 0                                                    // 0000000077C8: BF800000
	s_cmp_lt_i32 s59, s58                                      // 0000000077CC: BF043A3B
	v_mfma_f32_16x16x16_f16 v[132:135], v[70:71], a[94:95], v[132:135]// 0000000077D0: D3CD0084 1612BD46
	s_cbranch_scc0 label_0C2B                                  // 0000000077D8: BF84FDB4
	s_waitcnt lgkmcnt(4)                                       // 0000000077DC: BF8CC47F
	s_barrier                                                  // 0000000077E0: BF8A0000
	v_mfma_f32_16x16x16_f16 v[48:51], a[144:145], a[0:1], 0    // 0000000077E4: D3CD0030 1A020190
	v_mul_f32_e32 v128, s48, v128                              // 0000000077EC: 0B010030
	v_mul_f32_e32 v129, s48, v129                              // 0000000077F0: 0B030230
	v_mfma_f32_16x16x16_f16 v[48:51], a[146:147], a[2:3], v[48:51]// 0000000077F4: D3CD0030 1CC20592
	ds_write_b32 v11, v40 offset:8704                          // 0000000077FC: D81A2200 0000280B
	ds_write_b32 v11, v41 offset:9760                          // 000000007804: D81A2620 0000290B
	v_mfma_f32_16x16x16_f16 v[48:51], a[148:149], a[4:5], v[48:51]// 00000000780C: D3CD0030 1CC20994
	v_mul_f32_e32 v130, s48, v130                              // 000000007814: 0B050430
	v_mul_f32_e32 v131, s48, v131                              // 000000007818: 0B070630
	v_mfma_f32_16x16x16_f16 v[48:51], a[150:151], a[6:7], v[48:51]// 00000000781C: D3CD0030 1CC20D96
	ds_write_b32 v11, v42 offset:8832                          // 000000007824: D81A2280 00002A0B
	ds_write_b32 v11, v43 offset:9888                          // 00000000782C: D81A26A0 00002B0B
	v_mfma_f32_16x16x16_f16 v[48:51], a[152:153], a[8:9], v[48:51]// 000000007834: D3CD0030 1CC21198
	v_mul_f32_e32 v132, s48, v132                              // 00000000783C: 0B090830
	v_mul_f32_e32 v133, s48, v133                              // 000000007840: 0B0B0A30
	v_mfma_f32_16x16x16_f16 v[48:51], a[154:155], a[10:11], v[48:51]// 000000007844: D3CD0030 1CC2159A
	ds_write_b64 v20, v[128:129] offset:24320                  // 00000000784C: D89A5F00 00008014
	v_mfma_f32_16x16x16_f16 v[48:51], a[156:157], a[12:13], v[48:51]// 000000007854: D3CD0030 1CC2199C
	v_mul_f32_e32 v134, s48, v134                              // 00000000785C: 0B0D0C30
	v_mul_f32_e32 v135, s48, v135                              // 000000007860: 0B0F0E30
	v_mfma_f32_16x16x16_f16 v[48:51], a[158:159], a[14:15], v[48:51]// 000000007864: D3CD0030 1CC21D9E
	ds_write_b64 v20, v[130:131] offset:24832                  // 00000000786C: D89A6100 00008214
	v_mfma_f32_16x16x16_f16 v[52:55], a[144:145], a[16:17], 0  // 000000007874: D3CD0034 1A022190
	buffer_atomic_add_f32 v140, v7, s[32:35], 0 idxen offset:256// 00000000787C: E1342100 80088C07
	v_mfma_f32_16x16x16_f16 v[52:55], a[146:147], a[18:19], v[52:55]// 000000007884: D3CD0034 1CD22592
	ds_write_b64 v20, v[132:133] offset:25344                  // 00000000788C: D89A6300 00008414
	v_mfma_f32_16x16x16_f16 v[52:55], a[148:149], a[20:21], v[52:55]// 000000007894: D3CD0034 1CD22994
	v_mfma_f32_16x16x16_f16 v[52:55], a[150:151], a[22:23], v[52:55]// 00000000789C: D3CD0034 1CD22D96
	ds_write_b64 v20, v[134:135] offset:25856                  // 0000000078A4: D89A6500 00008614
	v_mfma_f32_16x16x16_f16 v[52:55], a[152:153], a[24:25], v[52:55]// 0000000078AC: D3CD0034 1CD23198
	buffer_atomic_add_f32 v141, v8, s[32:35], 0 idxen offset:256// 0000000078B4: E1342100 80088D08
	v_mfma_f32_16x16x16_f16 v[52:55], a[154:155], a[26:27], v[52:55]// 0000000078BC: D3CD0034 1CD2359A
	ds_read_b128 v[108:111], v12 offset:13056                  // 0000000078C4: D9FE3300 6C00000C
	ds_write_b32 v11, v32                                      // 0000000078CC: D81A0000 0000200B
	v_mfma_f32_16x16x16_f16 v[52:55], a[156:157], a[28:29], v[52:55]// 0000000078D4: D3CD0034 1CD2399C
	v_mfma_f32_16x16x16_f16 v[52:55], a[158:159], a[30:31], v[52:55]// 0000000078DC: D3CD0034 1CD23D9E
	v_mfma_f32_16x16x16_f16 v[56:59], a[144:145], a[32:33], 0  // 0000000078E4: D3CD0038 1A024190
	ds_read_b128 v[112:115], v12 offset:13568                  // 0000000078EC: D9FE3500 7000000C
	ds_write_b32 v11, v33 offset:1056                          // 0000000078F4: D81A0420 0000210B
	v_mfma_f32_16x16x16_f16 v[56:59], a[146:147], a[34:35], v[56:59]// 0000000078FC: D3CD0038 1CE24592
	buffer_atomic_add_f32 v142, v7, s[32:35], 0 idxen offset:384// 000000007904: E1342180 80088E07
	v_mfma_f32_16x16x16_f16 v[56:59], a[148:149], a[36:37], v[56:59]// 00000000790C: D3CD0038 1CE24994
	v_mfma_f32_16x16x16_f16 v[56:59], a[150:151], a[38:39], v[56:59]// 000000007914: D3CD0038 1CE24D96
	ds_read_b128 v[116:119], v12 offset:15232                  // 00000000791C: D9FE3B80 7400000C
	ds_write_b32 v11, v34 offset:128                           // 000000007924: D81A0080 0000220B
	v_mfma_f32_16x16x16_f16 v[56:59], a[152:153], a[40:41], v[56:59]// 00000000792C: D3CD0038 1CE25198
	v_mfma_f32_16x16x16_f16 v[56:59], a[154:155], a[42:43], v[56:59]// 000000007934: D3CD0038 1CE2559A
	buffer_atomic_add_f32 v143, v8, s[32:35], 0 idxen offset:384// 00000000793C: E1342180 80088F08
	v_mfma_f32_16x16x16_f16 v[56:59], a[156:157], a[44:45], v[56:59]// 000000007944: D3CD0038 1CE2599C
	ds_read_b128 v[120:123], v12 offset:15744                  // 00000000794C: D9FE3D80 7800000C
	ds_write_b32 v11, v35 offset:1184                          // 000000007954: D81A04A0 0000230B
	v_mfma_f32_16x16x16_f16 v[56:59], a[158:159], a[46:47], v[56:59]// 00000000795C: D3CD0038 1CE25D9E
	s_cmp_lt_i32 s73, 3                                        // 000000007964: BF048349
	s_cbranch_scc0 label_0EEA                                  // 000000007968: BF84000F
	s_cmp_eq_i32 s73, 1                                        // 00000000796C: BF008149
	s_cbranch_scc1 label_0EE0                                  // 000000007970: BF850003
	s_cmp_eq_i32 s73, 2                                        // 000000007974: BF008249
	s_cbranch_scc1 label_0EE5                                  // 000000007978: BF850006
	s_branch label_0EEA                                        // 00000000797C: BF82000A

0000000000007980 <label_0EE0>:
	v_mov_b32_e32 v52, v151                                    // 000000007980: 7E680397
	v_mov_b32_e32 v53, v151                                    // 000000007984: 7E6A0397
	v_mov_b32_e32 v54, v151                                    // 000000007988: 7E6C0397
	v_mov_b32_e32 v55, v151                                    // 00000000798C: 7E6E0397
	s_branch label_0EE5                                        // 000000007990: BF820000

0000000000007994 <label_0EE5>:
	v_mov_b32_e32 v56, v151                                    // 000000007994: 7E700397
	v_mov_b32_e32 v57, v151                                    // 000000007998: 7E720397
	v_mov_b32_e32 v58, v151                                    // 00000000799C: 7E740397
	v_mov_b32_e32 v59, v151                                    // 0000000079A0: 7E760397
	s_branch label_0EEA                                        // 0000000079A4: BF820000

00000000000079a8 <label_0EEA>:
	s_waitcnt lgkmcnt(8)                                       // 0000000079A8: BF8CC87F
	s_barrier                                                  // 0000000079AC: BF8A0000
	v_mfma_f32_16x16x16_f16 v[72:75], v[92:93], a[96:97], 0    // 0000000079B0: D3CD0048 1202C15C
	v_fma_f32 v48, v48, s57, -v124                             // 0000000079B8: D1CB0030 85F07330
	v_fma_f32 v49, v49, s57, -v125                             // 0000000079C0: D1CB0031 85F47331
	v_fma_f32 v50, v50, s57, -v126                             // 0000000079C8: D1CB0032 85F87332
	v_mfma_f32_16x16x16_f16 v[72:75], v[94:95], a[98:99], v[72:75]// 0000000079D0: D3CD0048 1522C55E
	ds_read_b128 a[144:147], v12 offset:4352                   // 0000000079D8: DBFE1100 9000000C
	ds_read_b128 a[148:151], v12 offset:4864                   // 0000000079E0: DBFE1300 9400000C
	v_mfma_f32_16x16x16_f16 v[72:75], v[96:97], a[100:101], v[72:75]// 0000000079E8: D3CD0048 1522C960
	v_fma_f32 v51, v51, s57, -v127                             // 0000000079F0: D1CB0033 85FC7333
	v_fma_f32 v52, v52, s57, -v124                             // 0000000079F8: D1CB0034 85F07334
	v_fma_f32 v53, v53, s57, -v125                             // 000000007A00: D1CB0035 85F47335
	v_mfma_f32_16x16x16_f16 v[72:75], v[98:99], a[102:103], v[72:75]// 000000007A08: D3CD0048 1522CD62
	v_fma_f32 v54, v54, s57, -v126                             // 000000007A10: D1CB0036 85F87336
	v_fma_f32 v55, v55, s57, -v127                             // 000000007A18: D1CB0037 85FC7337
	v_fma_f32 v56, v56, s57, -v124                             // 000000007A20: D1CB0038 85F07338
	v_mfma_f32_16x16x16_f16 v[72:75], v[100:101], a[104:105], v[72:75]// 000000007A28: D3CD0048 1522D164
	v_fma_f32 v57, v57, s57, -v125                             // 000000007A30: D1CB0039 85F47339
	v_fma_f32 v58, v58, s57, -v126                             // 000000007A38: D1CB003A 85F8733A
	v_fma_f32 v59, v59, s57, -v127                             // 000000007A40: D1CB003B 85FC733B
	v_mfma_f32_16x16x16_f16 v[72:75], v[102:103], a[106:107], v[72:75]// 000000007A48: D3CD0048 1522D566
	ds_read_b128 a[152:155], v12 offset:6528                   // 000000007A50: DBFE1980 9800000C
	ds_read_b128 a[156:159], v12 offset:7040                   // 000000007A58: DBFE1B80 9C00000C
	v_mfma_f32_16x16x16_f16 v[72:75], v[104:105], a[108:109], v[72:75]// 000000007A60: D3CD0048 1522D968
	v_exp_f32_e32 v48, v48                                     // 000000007A68: 7E604130
	v_mfma_f32_16x16x16_f16 v[72:75], v[106:107], a[110:111], v[72:75]// 000000007A6C: D3CD0048 1522DD6A
	v_exp_f32_e32 v49, v49                                     // 000000007A74: 7E624131
	v_mfma_f32_16x16x16_f16 v[76:79], v[92:93], a[112:113], 0  // 000000007A78: D3CD004C 1202E15C
	v_exp_f32_e32 v50, v50                                     // 000000007A80: 7E644132
	v_mfma_f32_16x16x16_f16 v[76:79], v[94:95], a[114:115], v[76:79]// 000000007A84: D3CD004C 1532E55E
	ds_read_b64 v[136:137], v19 offset:24320                   // 000000007A8C: D8EC5F00 88000013
	ds_read_b64 v[138:139], v19 offset:26368                   // 000000007A94: D8EC6700 8A000013
	v_mfma_f32_16x16x16_f16 v[76:79], v[96:97], a[116:117], v[76:79]// 000000007A9C: D3CD004C 1532E960
	v_exp_f32_e32 v51, v51                                     // 000000007AA4: 7E664133
	v_mfma_f32_16x16x16_f16 v[76:79], v[98:99], a[118:119], v[76:79]// 000000007AA8: D3CD004C 1532ED62
	ds_read_b64 v[140:141], v19 offset:28416                   // 000000007AB0: D8EC6F00 8C000013
	ds_read_b64 v[142:143], v19 offset:30464                   // 000000007AB8: D8EC7700 8E000013
	v_mfma_f32_16x16x16_f16 v[76:79], v[100:101], a[120:121], v[76:79]// 000000007AC0: D3CD004C 1532F164
	v_exp_f32_e32 v52, v52                                     // 000000007AC8: 7E684134
	v_mfma_f32_16x16x16_f16 v[76:79], v[102:103], a[122:123], v[76:79]// 000000007ACC: D3CD004C 1532F566
	v_exp_f32_e32 v53, v53                                     // 000000007AD4: 7E6A4135
	v_mfma_f32_16x16x16_f16 v[76:79], v[104:105], a[124:125], v[76:79]// 000000007AD8: D3CD004C 1532F968
	v_exp_f32_e32 v54, v54                                     // 000000007AE0: 7E6C4136
	v_mfma_f32_16x16x16_f16 v[76:79], v[106:107], a[126:127], v[76:79]// 000000007AE4: D3CD004C 1532FD6A
	v_exp_f32_e32 v55, v55                                     // 000000007AEC: 7E6E4137
	v_mfma_f32_16x16x16_f16 v[80:83], v[92:93], a[128:129], 0  // 000000007AF0: D3CD0050 1203015C
	v_exp_f32_e32 v56, v56                                     // 000000007AF8: 7E704138
	v_mfma_f32_16x16x16_f16 v[80:83], v[94:95], a[130:131], v[80:83]// 000000007AFC: D3CD0050 1543055E
	v_exp_f32_e32 v57, v57                                     // 000000007B04: 7E724139
	v_mfma_f32_16x16x16_f16 v[80:83], v[96:97], a[132:133], v[80:83]// 000000007B08: D3CD0050 15430960
	v_exp_f32_e32 v58, v58                                     // 000000007B10: 7E74413A
	v_mfma_f32_16x16x16_f16 v[80:83], v[98:99], a[134:135], v[80:83]// 000000007B14: D3CD0050 15430D62
	v_exp_f32_e32 v59, v59                                     // 000000007B1C: 7E76413B
	v_mfma_f32_16x16x16_f16 v[80:83], v[100:101], a[136:137], v[80:83]// 000000007B20: D3CD0050 15431164
	v_cvt_pkrtz_f16_f32 v144, v48, v49                         // 000000007B28: D2960090 00026330
	v_cvt_pkrtz_f16_f32 v145, v50, v51                         // 000000007B30: D2960091 00026732
	v_cvt_pkrtz_f16_f32 v146, v52, v53                         // 000000007B38: D2960092 00026B34
	v_mfma_f32_16x16x16_f16 v[80:83], v[102:103], a[138:139], v[80:83]// 000000007B40: D3CD0050 15431566
	v_cvt_pkrtz_f16_f32 v147, v54, v55                         // 000000007B48: D2960093 00026F36
	v_cvt_pkrtz_f16_f32 v148, v56, v57                         // 000000007B50: D2960094 00027338
	v_cvt_pkrtz_f16_f32 v149, v58, v59                         // 000000007B58: D2960095 0002773A
	v_mfma_f32_16x16x16_f16 v[80:83], v[104:105], a[140:141], v[80:83]// 000000007B60: D3CD0050 15431968
	s_add_u32 s32, s66, s32                                    // 000000007B68: 80202042
	s_addc_u32 s33, 0, s33                                     // 000000007B6C: 82212180
	v_mfma_f32_16x16x16_f16 v[80:83], v[106:107], a[142:143], v[80:83]// 000000007B70: D3CD0050 15431D6A
	s_waitcnt lgkmcnt(0)                                       // 000000007B78: BF8CC07F
	s_barrier                                                  // 000000007B7C: BF8A0000
	v_mfma_f32_16x16x16_f16 v[152:155], v[108:109], v[144:145], v[152:155]// 000000007B80: D3CD0098 0663216C
	v_subrev_f32_dpp v72, v150, v72 quad_perm:[0,0,0,0] row_mask:0xf bank_mask:0xf// 000000007B88: 069090FA FF000096
	v_subrev_f32_dpp v73, v150, v73 quad_perm:[1,1,1,1] row_mask:0xf bank_mask:0xf// 000000007B90: 069292FA FF005596
	v_subrev_f32_dpp v74, v150, v74 quad_perm:[2,2,2,2] row_mask:0xf bank_mask:0xf// 000000007B98: 069494FA FF00AA96
	v_mfma_f32_16x16x16_f16 v[156:159], v[110:111], v[144:145], v[156:159]// 000000007BA0: D3CD009C 0673216E
	v_subrev_f32_dpp v75, v150, v75 quad_perm:[3,3,3,3] row_mask:0xf bank_mask:0xf// 000000007BA8: 069696FA FF00FF96
	v_subrev_f32_dpp v76, v150, v76 quad_perm:[0,0,0,0] row_mask:0xf bank_mask:0xf// 000000007BB0: 069898FA FF000096
	v_subrev_f32_dpp v77, v150, v77 quad_perm:[1,1,1,1] row_mask:0xf bank_mask:0xf// 000000007BB8: 069A9AFA FF005596
	v_mfma_f32_16x16x16_f16 v[160:163], v[112:113], v[144:145], v[160:163]// 000000007BC0: D3CD00A0 06832170
	v_mul_f32_e32 v72, v48, v72                                // 000000007BC8: 0A909130
	v_mul_f32_e32 v73, v49, v73                                // 000000007BCC: 0A929331
	v_mul_f32_e32 v74, v50, v74                                // 000000007BD0: 0A949532
	v_mfma_f32_16x16x16_f16 v[164:167], v[114:115], v[144:145], v[164:167]// 000000007BD4: D3CD00A4 06932172
	v_mul_f32_e32 v75, v51, v75                                // 000000007BDC: 0A969733
	v_mul_f32_e32 v76, v52, v76                                // 000000007BE0: 0A989934
	v_mul_f32_e32 v77, v53, v77                                // 000000007BE4: 0A9A9B35
	v_mfma_f32_16x16x16_f16 v[168:171], v[116:117], v[144:145], v[168:171]// 000000007BE8: D3CD00A8 06A32174
	v_cvt_pkrtz_f16_f32 v72, v72, v73                          // 000000007BF0: D2960048 00029348
	v_cvt_pkrtz_f16_f32 v73, v74, v75                          // 000000007BF8: D2960049 0002974A
	v_cvt_pkrtz_f16_f32 v74, v76, v77                          // 000000007C00: D296004A 00029B4C
	v_mfma_f32_16x16x16_f16 v[172:175], v[118:119], v[144:145], v[172:175]// 000000007C08: D3CD00AC 06B32176
	v_mov_b32_dpp v16, v72 quad_perm:[1,0,3,2] row_mask:0xf bank_mask:0xf// 000000007C10: 7E2002FA FF00B148
	v_perm_b32 v48, v16, v72, v15                              // 000000007C18: D1ED0030 043E9110
	v_mov_b32_dpp v16, v73 quad_perm:[1,0,3,2] row_mask:0xf bank_mask:0xf// 000000007C20: 7E2002FA FF00B149
	v_mfma_f32_16x16x16_f16 v[176:179], v[120:121], v[144:145], v[176:179]// 000000007C28: D3CD00B0 06C32178
	ds_write_b32 v18, v48 offset:17408                         // 000000007C30: D81A4400 00003012
	v_mfma_f32_16x16x16_f16 v[180:183], v[122:123], v[144:145], v[180:183]// 000000007C38: D3CD00B4 06D3217A
	v_perm_b32 v49, v16, v73, v15                              // 000000007C40: D1ED0031 043E9310
	v_mov_b32_dpp v16, v74 quad_perm:[1,0,3,2] row_mask:0xf bank_mask:0xf// 000000007C48: 7E2002FA FF00B14A
	v_perm_b32 v50, v16, v74, v15                              // 000000007C50: D1ED0032 043E9510
	v_mfma_f32_16x16x16_f16 v[184:187], v[108:109], v[146:147], v[184:187]// 000000007C58: D3CD00B8 06E3256C
	ds_write_b32 v18, v49 offset:17952                         // 000000007C60: D81A4620 00003112
	v_mfma_f32_16x16x16_f16 v[188:191], v[110:111], v[146:147], v[188:191]// 000000007C68: D3CD00BC 06F3256E
	v_subrev_f32_dpp v78, v150, v78 quad_perm:[2,2,2,2] row_mask:0xf bank_mask:0xf// 000000007C70: 069C9CFA FF00AA96
	v_subrev_f32_dpp v79, v150, v79 quad_perm:[3,3,3,3] row_mask:0xf bank_mask:0xf// 000000007C78: 069E9EFA FF00FF96
	v_subrev_f32_dpp v80, v150, v80 quad_perm:[0,0,0,0] row_mask:0xf bank_mask:0xf// 000000007C80: 06A0A0FA FF000096
	v_mfma_f32_16x16x16_f16 v[192:195], v[112:113], v[146:147], v[192:195]// 000000007C88: D3CD00C0 07032570
	ds_write_b32 v18, v50 offset:19712                         // 000000007C90: D81A4D00 00003212
	v_mfma_f32_16x16x16_f16 v[196:199], v[114:115], v[146:147], v[196:199]// 000000007C98: D3CD00C4 07132572
	v_subrev_f32_dpp v81, v150, v81 quad_perm:[1,1,1,1] row_mask:0xf bank_mask:0xf// 000000007CA0: 06A2A2FA FF005596
	v_subrev_f32_dpp v82, v150, v82 quad_perm:[2,2,2,2] row_mask:0xf bank_mask:0xf// 000000007CA8: 06A4A4FA FF00AA96
	v_subrev_f32_dpp v83, v150, v83 quad_perm:[3,3,3,3] row_mask:0xf bank_mask:0xf// 000000007CB0: 06A6A6FA FF00FF96
	v_mfma_f32_16x16x16_f16 v[200:203], v[116:117], v[146:147], v[200:203]// 000000007CB8: D3CD00C8 07232574
	v_mul_f32_e32 v78, v54, v78                                // 000000007CC0: 0A9C9D36
	v_mul_f32_e32 v79, v55, v79                                // 000000007CC4: 0A9E9F37
	v_mul_f32_e32 v80, v56, v80                                // 000000007CC8: 0AA0A138
	v_mfma_f32_16x16x16_f16 v[204:207], v[118:119], v[146:147], v[204:207]// 000000007CCC: D3CD00CC 07332576
	v_mul_f32_e32 v81, v57, v81                                // 000000007CD4: 0AA2A339
	v_mul_f32_e32 v82, v58, v82                                // 000000007CD8: 0AA4A53A
	v_mul_f32_e32 v83, v59, v83                                // 000000007CDC: 0AA6A73B
	v_mfma_f32_16x16x16_f16 v[208:211], v[120:121], v[146:147], v[208:211]// 000000007CE0: D3CD00D0 07432578
	v_cvt_pkrtz_f16_f32 v75, v78, v79                          // 000000007CE8: D296004B 00029F4E
	v_cvt_pkrtz_f16_f32 v76, v80, v81                          // 000000007CF0: D296004C 0002A350
	v_cvt_pkrtz_f16_f32 v77, v82, v83                          // 000000007CF8: D296004D 0002A752
	v_mfma_f32_16x16x16_f16 v[212:215], v[122:123], v[146:147], v[212:215]// 000000007D00: D3CD00D4 0753257A
	v_mov_b32_dpp v16, v75 quad_perm:[1,0,3,2] row_mask:0xf bank_mask:0xf// 000000007D08: 7E2002FA FF00B14B
	v_perm_b32 v51, v16, v75, v15                              // 000000007D10: D1ED0033 043E9710
	v_mov_b32_dpp v16, v76 quad_perm:[1,0,3,2] row_mask:0xf bank_mask:0xf// 000000007D18: 7E2002FA FF00B14C
	v_mfma_f32_16x16x16_f16 v[216:219], v[108:109], v[148:149], v[216:219]// 000000007D20: D3CD00D8 0763296C
	ds_write_b32 v18, v51 offset:20256                         // 000000007D28: D81A4F20 00003312
	v_mfma_f32_16x16x16_f16 v[220:223], v[110:111], v[148:149], v[220:223]// 000000007D30: D3CD00DC 0773296E
	v_perm_b32 v52, v16, v76, v15                              // 000000007D38: D1ED0034 043E9910
	v_mov_b32_dpp v16, v77 quad_perm:[1,0,3,2] row_mask:0xf bank_mask:0xf// 000000007D40: 7E2002FA FF00B14D
	v_perm_b32 v53, v16, v77, v15                              // 000000007D48: D1ED0035 043E9B10
	v_mfma_f32_16x16x16_f16 v[224:227], v[112:113], v[148:149], v[224:227]// 000000007D50: D3CD00E0 07832970
	ds_write_b32 v18, v52 offset:22016                         // 000000007D58: D81A5600 00003412
	ds_write_b32 v18, v53 offset:22560                         // 000000007D60: D81A5820 00003512
	v_mfma_f32_16x16x16_f16 v[228:231], v[114:115], v[148:149], v[228:231]// 000000007D68: D3CD00E4 07932972
	v_mfma_f32_16x16x16_f16 v[232:235], v[116:117], v[148:149], v[232:235]// 000000007D70: D3CD00E8 07A32974
	ds_write_b32 v13, v84 offset:4352                          // 000000007D78: D81A1100 0000540D
	ds_write_b32 v13, v85 offset:5408                          // 000000007D80: D81A1520 0000550D
	v_mfma_f32_16x16x16_f16 v[236:239], v[118:119], v[148:149], v[236:239]// 000000007D88: D3CD00EC 07B32976
	v_mfma_f32_16x16x16_f16 v[240:243], v[120:121], v[148:149], v[240:243]// 000000007D90: D3CD00F0 07C32978
	ds_write_b32 v13, v86 offset:4480                          // 000000007D98: D81A1180 0000560D
	ds_write_b32 v13, v87 offset:5536                          // 000000007DA0: D81A15A0 0000570D
	v_mfma_f32_16x16x16_f16 v[244:247], v[122:123], v[148:149], v[244:247]// 000000007DA8: D3CD00F4 07D3297A
	s_nop 0                                                    // 000000007DB0: BF800000
	s_nop 0                                                    // 000000007DB4: BF800000
	s_nop 0                                                    // 000000007DB8: BF800000
	s_barrier                                                  // 000000007DBC: BF8A0000
	v_mfma_f32_16x16x16_f16 a[160:163], a[144:145], v[72:73], a[160:163]// 000000007DC0: D3CD80A0 0E829190
	ds_read_b32 v124, v21 offset:50688                         // 000000007DC8: D86CC600 7C000015
	ds_read_b32 v150, v21 offset:50944                         // 000000007DD0: D86CC700 96000015
	v_mfma_f32_16x16x16_f16 a[164:167], a[146:147], v[72:73], a[164:167]// 000000007DD8: D3CD80A4 0E929192
	buffer_atomic_add_f32 v136, v7, s[32:35], 0 idxen          // 000000007DE0: E1342000 80088807
	v_mfma_f32_16x16x16_f16 a[168:171], a[148:149], v[72:73], a[168:171]// 000000007DE8: D3CD80A8 0EA29194
	s_waitcnt lgkmcnt(6)                                       // 000000007DF0: BF8CC67F
	s_barrier                                                  // 000000007DF4: BF8A0000
	v_mfma_f32_16x16x16_f16 a[172:175], a[150:151], v[72:73], a[172:175]// 000000007DF8: D3CD80AC 0EB29196
	v_mfma_f32_16x16x16_f16 a[176:179], a[152:153], v[72:73], a[176:179]// 000000007E00: D3CD80B0 0EC29198
	ds_read_b128 v[48:51], v17 offset:17408                    // 000000007E08: D9FE4400 30000011
	v_mfma_f32_16x16x16_f16 a[180:183], a[154:155], v[72:73], a[180:183]// 000000007E10: D3CD80B4 0ED2919A
	v_mfma_f32_16x16x16_f16 a[184:187], a[156:157], v[72:73], a[184:187]// 000000007E18: D3CD80B8 0EE2919C
	ds_read_b128 v[52:55], v17 offset:18560                    // 000000007E20: D9FE4880 34000011
	v_mfma_f32_16x16x16_f16 a[188:191], a[158:159], v[72:73], a[188:191]// 000000007E28: D3CD80BC 0EF2919E
	buffer_atomic_add_f32 v137, v8, s[32:35], 0 idxen          // 000000007E30: E1342000 80088908
	v_mfma_f32_16x16x16_f16 a[192:195], a[144:145], v[74:75], a[192:195]// 000000007E38: D3CD80C0 0F029590
	ds_read_b128 v[56:59], v17 offset:19712                    // 000000007E40: D9FE4D00 38000011
	v_mfma_f32_16x16x16_f16 a[196:199], a[146:147], v[74:75], a[196:199]// 000000007E48: D3CD80C4 0F129592
	v_mfma_f32_16x16x16_f16 a[200:203], a[148:149], v[74:75], a[200:203]// 000000007E50: D3CD80C8 0F229594
	ds_read_b128 v[60:63], v17 offset:20864                    // 000000007E58: D9FE5180 3C000011
	v_mfma_f32_16x16x16_f16 a[204:207], a[150:151], v[74:75], a[204:207]// 000000007E60: D3CD80CC 0F329596
	v_mfma_f32_16x16x16_f16 a[208:211], a[152:153], v[74:75], a[208:211]// 000000007E68: D3CD80D0 0F429598
	ds_read_b128 v[64:67], v17 offset:22016                    // 000000007E70: D9FE5600 40000011
	v_mfma_f32_16x16x16_f16 a[212:215], a[154:155], v[74:75], a[212:215]// 000000007E78: D3CD80D4 0F52959A
	buffer_atomic_add_f32 v138, v7, s[32:35], 0 idxen offset:128// 000000007E80: E1342080 80088A07
	v_mfma_f32_16x16x16_f16 a[216:219], a[156:157], v[74:75], a[216:219]// 000000007E88: D3CD80D8 0F62959C
	ds_read_b128 v[68:71], v17 offset:23168                    // 000000007E90: D9FE5A80 44000011
	v_mfma_f32_16x16x16_f16 a[220:223], a[158:159], v[74:75], a[220:223]// 000000007E98: D3CD80DC 0F72959E
	v_mfma_f32_16x16x16_f16 a[224:227], a[144:145], v[76:77], a[224:227]// 000000007EA0: D3CD80E0 0F829990
	ds_write_b32 v13, v88 offset:13056                         // 000000007EA8: D81A3300 0000580D
	v_mfma_f32_16x16x16_f16 a[228:231], a[146:147], v[76:77], a[228:231]// 000000007EB0: D3CD80E4 0F929992
	v_mfma_f32_16x16x16_f16 a[232:235], a[148:149], v[76:77], a[232:235]// 000000007EB8: D3CD80E8 0FA29994
	ds_write_b32 v13, v89 offset:14112                         // 000000007EC0: D81A3720 0000590D
	v_mfma_f32_16x16x16_f16 a[236:239], a[150:151], v[76:77], a[236:239]// 000000007EC8: D3CD80EC 0FB29996
	buffer_atomic_add_f32 v139, v8, s[32:35], 0 idxen offset:128// 000000007ED0: E1342080 80088B08
	v_mfma_f32_16x16x16_f16 a[240:243], a[152:153], v[76:77], a[240:243]// 000000007ED8: D3CD80F0 0FC29998
	ds_write_b32 v13, v90 offset:13184                         // 000000007EE0: D81A3380 00005A0D
	v_mfma_f32_16x16x16_f16 a[244:247], a[154:155], v[76:77], a[244:247]// 000000007EE8: D3CD80F4 0FD2999A
	v_mfma_f32_16x16x16_f16 a[248:251], a[156:157], v[76:77], a[248:251]// 000000007EF0: D3CD80F8 0FE2999C
	ds_write_b32 v13, v91 offset:14240                         // 000000007EF8: D81A37A0 00005B0D
	v_mfma_f32_16x16x16_f16 a[252:255], a[158:159], v[76:77], a[252:255]// 000000007F00: D3CD80FC 0FF2999E
	s_waitcnt vmcnt(8) lgkmcnt(4)                              // 000000007F08: BF8C0478
	s_barrier                                                  // 000000007F0C: BF8A0000
	v_mfma_f32_16x16x16_f16 v[128:131], v[48:49], a[48:49], 0  // 000000007F10: D3CD0080 12026130
	ds_read_b128 a[144:147], v10                               // 000000007F18: DBFE0000 9000000A
	buffer_load_dword v32, v1, s[8:11], 0 idxen                // 000000007F20: E0502000 80022001
	v_mfma_f32_16x16x16_f16 v[128:131], v[50:51], a[52:53], v[128:131]// 000000007F28: D3CD0080 16026932
	v_mul_f32_e32 v124, s49, v124                              // 000000007F30: 0AF8F831
	s_nop 0                                                    // 000000007F34: BF800000
	v_mfma_f32_16x16x16_f16 v[128:131], v[52:53], a[56:57], v[128:131]// 000000007F38: D3CD0080 16027134
	ds_read_b128 a[148:151], v10 offset:512                    // 000000007F40: DBFE0200 9400000A
	buffer_load_dword v33, v2, s[8:11], 0 idxen                // 000000007F48: E0502000 80022102
	v_mfma_f32_16x16x16_f16 v[128:131], v[54:55], a[60:61], v[128:131]// 000000007F50: D3CD0080 16027936
	v_mfma_f32_16x16x16_f16 v[128:131], v[56:57], a[64:65], v[128:131]// 000000007F58: D3CD0080 16028138
	ds_read_b128 a[152:155], v10 offset:2176                   // 000000007F60: DBFE0880 9800000A
	buffer_load_dword v34, v3, s[8:11], 0 idxen                // 000000007F68: E0502000 80022203
	v_mfma_f32_16x16x16_f16 v[128:131], v[58:59], a[68:69], v[128:131]// 000000007F70: D3CD0080 1602893A
	v_perm_b32 v84, v37, v36, s63                              // 000000007F78: D1ED0054 00FE4925
	v_perm_b32 v85, v37, v36, s64                              // 000000007F80: D1ED0055 01024925
	v_mfma_f32_16x16x16_f16 v[128:131], v[60:61], a[72:73], v[128:131]// 000000007F88: D3CD0080 1602913C
	ds_read_b128 a[156:159], v10 offset:2688                   // 000000007F90: DBFE0A80 9C00000A
	buffer_load_dword v35, v4, s[8:11], 0 idxen                // 000000007F98: E0502000 80022304
	v_mfma_f32_16x16x16_f16 v[128:131], v[62:63], a[76:77], v[128:131]// 000000007FA0: D3CD0080 1602993E
	v_perm_b32 v86, v39, v38, s63                              // 000000007FA8: D1ED0056 00FE4D27
	v_perm_b32 v87, v39, v38, s64                              // 000000007FB0: D1ED0057 01024D27
	v_mfma_f32_16x16x16_f16 v[128:131], v[64:65], a[80:81], v[128:131]// 000000007FB8: D3CD0080 1602A140
	ds_read_b128 v[92:95], v10 offset:8704                     // 000000007FC0: D9FE2200 5C00000A
	buffer_load_dword v40, v1, s[20:23], 0 idxen               // 000000007FC8: E0502000 80052801
	v_mfma_f32_16x16x16_f16 v[128:131], v[66:67], a[84:85], v[128:131]// 000000007FD0: D3CD0080 1602A942
	v_perm_b32 v88, v45, v44, s63                              // 000000007FD8: D1ED0058 00FE592D
	v_perm_b32 v89, v45, v44, s64                              // 000000007FE0: D1ED0059 0102592D
	v_mfma_f32_16x16x16_f16 v[128:131], v[68:69], a[88:89], v[128:131]// 000000007FE8: D3CD0080 1602B144
	ds_read_b128 v[96:99], v10 offset:9216                     // 000000007FF0: D9FE2400 6000000A
	buffer_load_dword v41, v2, s[20:23], 0 idxen               // 000000007FF8: E0502000 80052902
	v_mfma_f32_16x16x16_f16 v[128:131], v[70:71], a[92:93], v[128:131]// 000000008000: D3CD0080 1602B946
	v_perm_b32 v90, v47, v46, s63                              // 000000008008: D1ED005A 00FE5D2F
	v_perm_b32 v91, v47, v46, s64                              // 000000008010: D1ED005B 01025D2F
	v_mfma_f32_16x16x16_f16 v[132:135], v[48:49], a[50:51], 0  // 000000008018: D3CD0084 12026530
	ds_read_b128 v[100:103], v10 offset:10880                  // 000000008020: D9FE2A80 6400000A
	buffer_load_dword v42, v3, s[20:23], 0 idxen               // 000000008028: E0502000 80052A03
	v_mfma_f32_16x16x16_f16 v[132:135], v[50:51], a[54:55], v[132:135]// 000000008030: D3CD0084 16126D32
	v_mov_b32_dpp v127, v124 quad_perm:[3,3,3,3] row_mask:0xf bank_mask:0xf// 000000008038: 7EFE02FA FF00FF7C
	v_mov_b32_dpp v126, v124 quad_perm:[2,2,2,2] row_mask:0xf bank_mask:0xf// 000000008040: 7EFC02FA FF00AA7C
	v_mfma_f32_16x16x16_f16 v[132:135], v[52:53], a[58:59], v[132:135]// 000000008048: D3CD0084 16127534
	ds_read_b128 v[104:107], v10 offset:11392                  // 000000008050: D9FE2C80 6800000A
	buffer_load_dword v43, v4, s[20:23], 0 idxen               // 000000008058: E0502000 80052B04
	v_mfma_f32_16x16x16_f16 v[132:135], v[54:55], a[62:63], v[132:135]// 000000008060: D3CD0084 16127D36
	v_mov_b32_dpp v125, v124 quad_perm:[1,1,1,1] row_mask:0xf bank_mask:0xf// 000000008068: 7EFA02FA FF00557C
	v_mov_b32_dpp v124, v124 quad_perm:[0,0,0,0] row_mask:0xf bank_mask:0xf// 000000008070: 7EF802FA FF00007C
	s_add_u32 s60, 64, s59                                     // 000000008078: 803C3BC0
	v_mfma_f32_16x16x16_f16 v[132:135], v[56:57], a[66:67], v[132:135]// 00000000807C: D3CD0084 16128538
	buffer_load_dword v9, s[24:27], 0 idxen lds                // 000000008084: E0512000 80060009
	v_mfma_f32_16x16x16_f16 v[132:135], v[58:59], a[70:71], v[132:135]// 00000000808C: D3CD0084 16128D3A
	s_cmp_lt_u32 s60, s58                                      // 000000008094: BF0A3A3C
	s_cselect_b32 s68, s68, 0                                  // 000000008098: 85448044
	s_cselect_b32 s69, s69, 0                                  // 00000000809C: 85458045
	v_mfma_f32_16x16x16_f16 v[132:135], v[60:61], a[74:75], v[132:135]// 0000000080A0: D3CD0084 1612953C
	s_add_u32 s8, s68, s8                                      // 0000000080A8: 80080844
	s_addc_u32 s9, 0, s9                                       // 0000000080AC: 82090980
	v_mfma_f32_16x16x16_f16 v[132:135], v[62:63], a[78:79], v[132:135]// 0000000080B0: D3CD0084 16129D3E
	s_add_u32 s20, s68, s20                                    // 0000000080B8: 80141444
	s_addc_u32 s21, 0, s21                                     // 0000000080BC: 82151580
	v_mfma_f32_16x16x16_f16 v[132:135], v[64:65], a[82:83], v[132:135]// 0000000080C0: D3CD0084 1612A540
	s_mov_b32 m0, s75                                          // 0000000080C8: BEFC004B
	v_add_u32_e32 v9, s69, v9                                  // 0000000080CC: 68121245
	v_mfma_f32_16x16x16_f16 v[132:135], v[66:67], a[86:87], v[132:135]// 0000000080D0: D3CD0084 1612AD42
	s_cmp_ge_u32 s59, 16                                       // 0000000080D8: BF09903B
	s_cselect_b32 s66, s67, s66                                // 0000000080DC: 85424243
	v_mfma_f32_16x16x16_f16 v[132:135], v[68:69], a[90:91], v[132:135]// 0000000080E0: D3CD0084 1612B544
	s_addk_i32 s59, 0x10                                       // 0000000080E8: B73B0010
	s_nop 0                                                    // 0000000080EC: BF800000
	s_cmp_lt_i32 s59, s58                                      // 0000000080F0: BF043A3B
	v_mfma_f32_16x16x16_f16 v[132:135], v[70:71], a[94:95], v[132:135]// 0000000080F4: D3CD0084 1612BD46
	s_cbranch_scc0 label_0C2B                                  // 0000000080FC: BF84FB6B
	s_branch label_0C2E                                        // 000000008100: BF82FB6D

0000000000008104 <label_10C1>:
	buffer_atomic_add_f32 v140, v7, s[32:35], 0 idxen offset:256// 000000008104: E1342100 80088C07
	buffer_atomic_add_f32 v141, v8, s[32:35], 0 idxen offset:256// 00000000810C: E1342100 80088D08
	buffer_atomic_add_f32 v142, v7, s[32:35], 0 idxen offset:384// 000000008114: E1342180 80088E07
	buffer_atomic_add_f32 v143, v8, s[32:35], 0 idxen offset:384// 00000000811C: E1342180 80088F08
	s_add_u32 s32, s66, s32                                    // 000000008124: 80202042
	s_addc_u32 s33, 0, s33                                     // 000000008128: 82212180
	v_lshrrev_b32_e32 v28, 5, v0                               // 00000000812C: 20380085
	v_mul_i32_i24_e32 v25, 0x42, v28                           // 000000008130: 0C3238FF 00000042
	v_and_b32_e32 v28, 31, v0                                  // 000000008138: 2638009F
	v_mul_i32_i24_e32 v29, 2, v28                              // 00000000813C: 0C3A3882
	v_add_u32_e32 v25, v29, v25                                // 000000008140: 6832331D
	s_mul_i32 s60, s47, 0x420                                  // 000000008144: 923CFF2F 00000420
	v_add_u32_e32 v25, s60, v25                                // 00000000814C: 6832323C
	v_lshlrev_b32_e32 v25, 2, v25                              // 000000008150: 24323282
	v_mul_f32_e32 v128, s48, v128                              // 000000008154: 0B010030
	v_mul_f32_e32 v129, s48, v129                              // 000000008158: 0B030230
	v_mul_f32_e32 v130, s48, v130                              // 00000000815C: 0B050430
	v_mul_f32_e32 v131, s48, v131                              // 000000008160: 0B070630
	v_mul_f32_e32 v132, s48, v132                              // 000000008164: 0B090830
	v_mul_f32_e32 v133, s48, v133                              // 000000008168: 0B0B0A30
	v_mul_f32_e32 v134, s48, v134                              // 00000000816C: 0B0D0C30
	v_mul_f32_e32 v135, s48, v135                              // 000000008170: 0B0F0E30
	ds_write_b64 v20, v[128:129] offset:24320                  // 000000008174: D89A5F00 00008014
	ds_write_b64 v20, v[130:131] offset:24832                  // 00000000817C: D89A6100 00008214
	ds_write_b64 v20, v[132:133] offset:25344                  // 000000008184: D89A6300 00008414
	ds_write_b64 v20, v[134:135] offset:25856                  // 00000000818C: D89A6500 00008614
	s_waitcnt lgkmcnt(0)                                       // 000000008194: BF8CC07F
	s_barrier                                                  // 000000008198: BF8A0000
	ds_read_b64 v[136:137], v19 offset:24320                   // 00000000819C: D8EC5F00 88000013
	ds_read_b64 v[138:139], v19 offset:26368                   // 0000000081A4: D8EC6700 8A000013
	ds_read_b64 v[140:141], v19 offset:28416                   // 0000000081AC: D8EC6F00 8C000013
	ds_read_b64 v[142:143], v19 offset:30464                   // 0000000081B4: D8EC7700 8E000013
	s_waitcnt lgkmcnt(0)                                       // 0000000081BC: BF8CC07F
	s_barrier                                                  // 0000000081C0: BF8A0000
	buffer_atomic_add_f32 v136, v7, s[32:35], 0 idxen          // 0000000081C4: E1342000 80088807
	buffer_atomic_add_f32 v137, v8, s[32:35], 0 idxen          // 0000000081CC: E1342000 80088908
	buffer_atomic_add_f32 v138, v7, s[32:35], 0 idxen offset:128// 0000000081D4: E1342080 80088A07
	buffer_atomic_add_f32 v139, v8, s[32:35], 0 idxen offset:128// 0000000081DC: E1342080 80088B08
	buffer_atomic_add_f32 v140, v7, s[32:35], 0 idxen offset:256// 0000000081E4: E1342100 80088C07
	buffer_atomic_add_f32 v141, v8, s[32:35], 0 idxen offset:256// 0000000081EC: E1342100 80088D08
	buffer_atomic_add_f32 v142, v7, s[32:35], 0 idxen offset:384// 0000000081F4: E1342180 80088E07
	buffer_atomic_add_f32 v143, v8, s[32:35], 0 idxen offset:384// 0000000081FC: E1342180 80088F08
	v_lshrrev_b32_e32 v28, 4, v0                               // 000000008204: 20380084
	v_mul_i32_i24_e32 v24, 2, v28                              // 000000008208: 0C303882
	v_and_b32_e32 v28, 15, v0                                  // 00000000820C: 2638008F
	v_mul_i32_i24_e32 v29, 0x42, v28                           // 000000008210: 0C3A38FF 00000042
	v_add_u32_e32 v24, v29, v24                                // 000000008218: 6830311D
	s_mul_i32 s60, s47, 0x420                                  // 00000000821C: 923CFF2F 00000420
	v_add_u32_e32 v24, s60, v24                                // 000000008224: 6830303C
	v_lshlrev_b32_e32 v24, 2, v24                              // 000000008228: 24303082
	v_accvgpr_read_b32 v28, a160                               // 00000000822C: D3D8401C 180001A0
	v_accvgpr_read_b32 v29, a161                               // 000000008234: D3D8401D 180001A1
	v_mul_f32_e32 v28, s48, v28                                // 00000000823C: 0A383830
	v_mul_f32_e32 v29, s48, v29                                // 000000008240: 0A3A3A30
	v_cvt_pkrtz_f16_f32 v48, v28, v29                          // 000000008244: D2960030 00023B1C
	v_accvgpr_read_b32 v28, a162                               // 00000000824C: D3D8401C 180001A2
	v_accvgpr_read_b32 v29, a163                               // 000000008254: D3D8401D 180001A3
	v_mul_f32_e32 v28, s48, v28                                // 00000000825C: 0A383830
	v_mul_f32_e32 v29, s48, v29                                // 000000008260: 0A3A3A30
	v_cvt_pkrtz_f16_f32 v49, v28, v29                          // 000000008264: D2960031 00023B1C
	v_accvgpr_read_b32 v28, a164                               // 00000000826C: D3D8401C 180001A4
	v_accvgpr_read_b32 v29, a165                               // 000000008274: D3D8401D 180001A5
	v_mul_f32_e32 v28, s48, v28                                // 00000000827C: 0A383830
	v_mul_f32_e32 v29, s48, v29                                // 000000008280: 0A3A3A30
	v_cvt_pkrtz_f16_f32 v50, v28, v29                          // 000000008284: D2960032 00023B1C
	v_accvgpr_read_b32 v28, a166                               // 00000000828C: D3D8401C 180001A6
	v_accvgpr_read_b32 v29, a167                               // 000000008294: D3D8401D 180001A7
	v_mul_f32_e32 v28, s48, v28                                // 00000000829C: 0A383830
	v_mul_f32_e32 v29, s48, v29                                // 0000000082A0: 0A3A3A30
	v_cvt_pkrtz_f16_f32 v51, v28, v29                          // 0000000082A4: D2960033 00023B1C
	v_accvgpr_read_b32 v28, a168                               // 0000000082AC: D3D8401C 180001A8
	v_accvgpr_read_b32 v29, a169                               // 0000000082B4: D3D8401D 180001A9
	v_mul_f32_e32 v28, s48, v28                                // 0000000082BC: 0A383830
	v_mul_f32_e32 v29, s48, v29                                // 0000000082C0: 0A3A3A30
	v_cvt_pkrtz_f16_f32 v52, v28, v29                          // 0000000082C4: D2960034 00023B1C
	v_accvgpr_read_b32 v28, a170                               // 0000000082CC: D3D8401C 180001AA
	v_accvgpr_read_b32 v29, a171                               // 0000000082D4: D3D8401D 180001AB
	v_mul_f32_e32 v28, s48, v28                                // 0000000082DC: 0A383830
	v_mul_f32_e32 v29, s48, v29                                // 0000000082E0: 0A3A3A30
	v_cvt_pkrtz_f16_f32 v53, v28, v29                          // 0000000082E4: D2960035 00023B1C
	v_accvgpr_read_b32 v28, a172                               // 0000000082EC: D3D8401C 180001AC
	v_accvgpr_read_b32 v29, a173                               // 0000000082F4: D3D8401D 180001AD
	v_mul_f32_e32 v28, s48, v28                                // 0000000082FC: 0A383830
	v_mul_f32_e32 v29, s48, v29                                // 000000008300: 0A3A3A30
	v_cvt_pkrtz_f16_f32 v54, v28, v29                          // 000000008304: D2960036 00023B1C
	v_accvgpr_read_b32 v28, a174                               // 00000000830C: D3D8401C 180001AE
	v_accvgpr_read_b32 v29, a175                               // 000000008314: D3D8401D 180001AF
	v_mul_f32_e32 v28, s48, v28                                // 00000000831C: 0A383830
	v_mul_f32_e32 v29, s48, v29                                // 000000008320: 0A3A3A30
	v_cvt_pkrtz_f16_f32 v55, v28, v29                          // 000000008324: D2960037 00023B1C
	v_accvgpr_read_b32 v28, a176                               // 00000000832C: D3D8401C 180001B0
	v_accvgpr_read_b32 v29, a177                               // 000000008334: D3D8401D 180001B1
	v_mul_f32_e32 v28, s48, v28                                // 00000000833C: 0A383830
	v_mul_f32_e32 v29, s48, v29                                // 000000008340: 0A3A3A30
	v_cvt_pkrtz_f16_f32 v56, v28, v29                          // 000000008344: D2960038 00023B1C
	v_accvgpr_read_b32 v28, a178                               // 00000000834C: D3D8401C 180001B2
	v_accvgpr_read_b32 v29, a179                               // 000000008354: D3D8401D 180001B3
	v_mul_f32_e32 v28, s48, v28                                // 00000000835C: 0A383830
	v_mul_f32_e32 v29, s48, v29                                // 000000008360: 0A3A3A30
	v_cvt_pkrtz_f16_f32 v57, v28, v29                          // 000000008364: D2960039 00023B1C
	v_accvgpr_read_b32 v28, a180                               // 00000000836C: D3D8401C 180001B4
	v_accvgpr_read_b32 v29, a181                               // 000000008374: D3D8401D 180001B5
	v_mul_f32_e32 v28, s48, v28                                // 00000000837C: 0A383830
	v_mul_f32_e32 v29, s48, v29                                // 000000008380: 0A3A3A30
	v_cvt_pkrtz_f16_f32 v58, v28, v29                          // 000000008384: D296003A 00023B1C
	v_accvgpr_read_b32 v28, a182                               // 00000000838C: D3D8401C 180001B6
	v_accvgpr_read_b32 v29, a183                               // 000000008394: D3D8401D 180001B7
	v_mul_f32_e32 v28, s48, v28                                // 00000000839C: 0A383830
	v_mul_f32_e32 v29, s48, v29                                // 0000000083A0: 0A3A3A30
	v_cvt_pkrtz_f16_f32 v59, v28, v29                          // 0000000083A4: D296003B 00023B1C
	v_accvgpr_read_b32 v28, a184                               // 0000000083AC: D3D8401C 180001B8
	v_accvgpr_read_b32 v29, a185                               // 0000000083B4: D3D8401D 180001B9
	v_mul_f32_e32 v28, s48, v28                                // 0000000083BC: 0A383830
	v_mul_f32_e32 v29, s48, v29                                // 0000000083C0: 0A3A3A30
	v_cvt_pkrtz_f16_f32 v60, v28, v29                          // 0000000083C4: D296003C 00023B1C
	v_accvgpr_read_b32 v28, a186                               // 0000000083CC: D3D8401C 180001BA
	v_accvgpr_read_b32 v29, a187                               // 0000000083D4: D3D8401D 180001BB
	v_mul_f32_e32 v28, s48, v28                                // 0000000083DC: 0A383830
	v_mul_f32_e32 v29, s48, v29                                // 0000000083E0: 0A3A3A30
	v_cvt_pkrtz_f16_f32 v61, v28, v29                          // 0000000083E4: D296003D 00023B1C
	v_accvgpr_read_b32 v28, a188                               // 0000000083EC: D3D8401C 180001BC
	v_accvgpr_read_b32 v29, a189                               // 0000000083F4: D3D8401D 180001BD
	v_mul_f32_e32 v28, s48, v28                                // 0000000083FC: 0A383830
	v_mul_f32_e32 v29, s48, v29                                // 000000008400: 0A3A3A30
	v_cvt_pkrtz_f16_f32 v62, v28, v29                          // 000000008404: D296003E 00023B1C
	v_accvgpr_read_b32 v28, a190                               // 00000000840C: D3D8401C 180001BE
	v_accvgpr_read_b32 v29, a191                               // 000000008414: D3D8401D 180001BF
	v_mul_f32_e32 v28, s48, v28                                // 00000000841C: 0A383830
	v_mul_f32_e32 v29, s48, v29                                // 000000008420: 0A3A3A30
	v_cvt_pkrtz_f16_f32 v63, v28, v29                          // 000000008424: D296003F 00023B1C
	ds_write_b64 v25, v[48:49]                                 // 00000000842C: D89A0000 00003019
	ds_write_b64 v25, v[50:51] offset:528                      // 000000008434: D89A0210 00003219
	ds_write_b64 v25, v[52:53] offset:1056                     // 00000000843C: D89A0420 00003419
	ds_write_b64 v25, v[54:55] offset:1584                     // 000000008444: D89A0630 00003619
	ds_write_b64 v25, v[56:57] offset:2112                     // 00000000844C: D89A0840 00003819
	ds_write_b64 v25, v[58:59] offset:2640                     // 000000008454: D89A0A50 00003A19
	ds_write_b64 v25, v[60:61] offset:3168                     // 00000000845C: D89A0C60 00003C19
	ds_write_b64 v25, v[62:63] offset:3696                     // 000000008464: D89A0E70 00003E19
	s_waitcnt lgkmcnt(0)                                       // 00000000846C: BF8CC07F
	s_barrier                                                  // 000000008470: BF8A0000
	ds_read_b64 v[48:49], v24                                  // 000000008474: D8EC0000 30000018
	ds_read_b64 v[50:51], v24 offset:128                       // 00000000847C: D8EC0080 32000018
	ds_read_b64 v[52:53], v24 offset:32                        // 000000008484: D8EC0020 34000018
	ds_read_b64 v[54:55], v24 offset:160                       // 00000000848C: D8EC00A0 36000018
	ds_read_b64 v[56:57], v24 offset:64                        // 000000008494: D8EC0040 38000018
	ds_read_b64 v[58:59], v24 offset:192                       // 00000000849C: D8EC00C0 3A000018
	ds_read_b64 v[60:61], v24 offset:96                        // 0000000084A4: D8EC0060 3C000018
	ds_read_b64 v[62:63], v24 offset:224                       // 0000000084AC: D8EC00E0 3E000018
	s_waitcnt lgkmcnt(0)                                       // 0000000084B4: BF8CC07F
	buffer_store_dwordx4 v[48:51], v5, s[36:39], 0 idxen       // 0000000084B8: E07C2000 80093005
	v_add_u32_e32 v5, s46, v5                                  // 0000000084C0: 680A0A2E
	buffer_store_dwordx4 v[52:55], v5, s[36:39], 0 idxen       // 0000000084C4: E07C2000 80093405
	v_add_u32_e32 v5, s46, v5                                  // 0000000084CC: 680A0A2E
	buffer_store_dwordx4 v[56:59], v5, s[36:39], 0 idxen       // 0000000084D0: E07C2000 80093805
	v_add_u32_e32 v5, s46, v5                                  // 0000000084D8: 680A0A2E
	buffer_store_dwordx4 v[60:63], v5, s[36:39], 0 idxen       // 0000000084DC: E07C2000 80093C05
	v_add_u32_e32 v5, s46, v5                                  // 0000000084E4: 680A0A2E
	s_mul_i32 s60, 12, s46                                     // 0000000084E8: 923C2E8C
	v_add_u32_e32 v5, s60, v5                                  // 0000000084EC: 680A0A3C
	s_barrier                                                  // 0000000084F0: BF8A0000
	s_cmp_ge_i32 1, s73                                        // 0000000084F4: BF034981
	s_cbranch_scc1 label_1327                                  // 0000000084F8: BF850168
	v_accvgpr_read_b32 v28, a192                               // 0000000084FC: D3D8401C 180001C0
	v_accvgpr_read_b32 v29, a193                               // 000000008504: D3D8401D 180001C1
	v_mul_f32_e32 v28, s48, v28                                // 00000000850C: 0A383830
	v_mul_f32_e32 v29, s48, v29                                // 000000008510: 0A3A3A30
	v_cvt_pkrtz_f16_f32 v64, v28, v29                          // 000000008514: D2960040 00023B1C
	v_accvgpr_read_b32 v28, a194                               // 00000000851C: D3D8401C 180001C2
	v_accvgpr_read_b32 v29, a195                               // 000000008524: D3D8401D 180001C3
	v_mul_f32_e32 v28, s48, v28                                // 00000000852C: 0A383830
	v_mul_f32_e32 v29, s48, v29                                // 000000008530: 0A3A3A30
	v_cvt_pkrtz_f16_f32 v65, v28, v29                          // 000000008534: D2960041 00023B1C
	v_accvgpr_read_b32 v28, a196                               // 00000000853C: D3D8401C 180001C4
	v_accvgpr_read_b32 v29, a197                               // 000000008544: D3D8401D 180001C5
	v_mul_f32_e32 v28, s48, v28                                // 00000000854C: 0A383830
	v_mul_f32_e32 v29, s48, v29                                // 000000008550: 0A3A3A30
	v_cvt_pkrtz_f16_f32 v66, v28, v29                          // 000000008554: D2960042 00023B1C
	v_accvgpr_read_b32 v28, a198                               // 00000000855C: D3D8401C 180001C6
	v_accvgpr_read_b32 v29, a199                               // 000000008564: D3D8401D 180001C7
	v_mul_f32_e32 v28, s48, v28                                // 00000000856C: 0A383830
	v_mul_f32_e32 v29, s48, v29                                // 000000008570: 0A3A3A30
	v_cvt_pkrtz_f16_f32 v67, v28, v29                          // 000000008574: D2960043 00023B1C
	v_accvgpr_read_b32 v28, a200                               // 00000000857C: D3D8401C 180001C8
	v_accvgpr_read_b32 v29, a201                               // 000000008584: D3D8401D 180001C9
	v_mul_f32_e32 v28, s48, v28                                // 00000000858C: 0A383830
	v_mul_f32_e32 v29, s48, v29                                // 000000008590: 0A3A3A30
	v_cvt_pkrtz_f16_f32 v68, v28, v29                          // 000000008594: D2960044 00023B1C
	v_accvgpr_read_b32 v28, a202                               // 00000000859C: D3D8401C 180001CA
	v_accvgpr_read_b32 v29, a203                               // 0000000085A4: D3D8401D 180001CB
	v_mul_f32_e32 v28, s48, v28                                // 0000000085AC: 0A383830
	v_mul_f32_e32 v29, s48, v29                                // 0000000085B0: 0A3A3A30
	v_cvt_pkrtz_f16_f32 v69, v28, v29                          // 0000000085B4: D2960045 00023B1C
	v_accvgpr_read_b32 v28, a204                               // 0000000085BC: D3D8401C 180001CC
	v_accvgpr_read_b32 v29, a205                               // 0000000085C4: D3D8401D 180001CD
	v_mul_f32_e32 v28, s48, v28                                // 0000000085CC: 0A383830
	v_mul_f32_e32 v29, s48, v29                                // 0000000085D0: 0A3A3A30
	v_cvt_pkrtz_f16_f32 v70, v28, v29                          // 0000000085D4: D2960046 00023B1C
	v_accvgpr_read_b32 v28, a206                               // 0000000085DC: D3D8401C 180001CE
	v_accvgpr_read_b32 v29, a207                               // 0000000085E4: D3D8401D 180001CF
	v_mul_f32_e32 v28, s48, v28                                // 0000000085EC: 0A383830
	v_mul_f32_e32 v29, s48, v29                                // 0000000085F0: 0A3A3A30
	v_cvt_pkrtz_f16_f32 v71, v28, v29                          // 0000000085F4: D2960047 00023B1C
	v_accvgpr_read_b32 v28, a208                               // 0000000085FC: D3D8401C 180001D0
	v_accvgpr_read_b32 v29, a209                               // 000000008604: D3D8401D 180001D1
	v_mul_f32_e32 v28, s48, v28                                // 00000000860C: 0A383830
	v_mul_f32_e32 v29, s48, v29                                // 000000008610: 0A3A3A30
	v_cvt_pkrtz_f16_f32 v72, v28, v29                          // 000000008614: D2960048 00023B1C
	v_accvgpr_read_b32 v28, a210                               // 00000000861C: D3D8401C 180001D2
	v_accvgpr_read_b32 v29, a211                               // 000000008624: D3D8401D 180001D3
	v_mul_f32_e32 v28, s48, v28                                // 00000000862C: 0A383830
	v_mul_f32_e32 v29, s48, v29                                // 000000008630: 0A3A3A30
	v_cvt_pkrtz_f16_f32 v73, v28, v29                          // 000000008634: D2960049 00023B1C
	v_accvgpr_read_b32 v28, a212                               // 00000000863C: D3D8401C 180001D4
	v_accvgpr_read_b32 v29, a213                               // 000000008644: D3D8401D 180001D5
	v_mul_f32_e32 v28, s48, v28                                // 00000000864C: 0A383830
	v_mul_f32_e32 v29, s48, v29                                // 000000008650: 0A3A3A30
	v_cvt_pkrtz_f16_f32 v74, v28, v29                          // 000000008654: D296004A 00023B1C
	v_accvgpr_read_b32 v28, a214                               // 00000000865C: D3D8401C 180001D6
	v_accvgpr_read_b32 v29, a215                               // 000000008664: D3D8401D 180001D7
	v_mul_f32_e32 v28, s48, v28                                // 00000000866C: 0A383830
	v_mul_f32_e32 v29, s48, v29                                // 000000008670: 0A3A3A30
	v_cvt_pkrtz_f16_f32 v75, v28, v29                          // 000000008674: D296004B 00023B1C
	v_accvgpr_read_b32 v28, a216                               // 00000000867C: D3D8401C 180001D8
	v_accvgpr_read_b32 v29, a217                               // 000000008684: D3D8401D 180001D9
	v_mul_f32_e32 v28, s48, v28                                // 00000000868C: 0A383830
	v_mul_f32_e32 v29, s48, v29                                // 000000008690: 0A3A3A30
	v_cvt_pkrtz_f16_f32 v76, v28, v29                          // 000000008694: D296004C 00023B1C
	v_accvgpr_read_b32 v28, a218                               // 00000000869C: D3D8401C 180001DA
	v_accvgpr_read_b32 v29, a219                               // 0000000086A4: D3D8401D 180001DB
	v_mul_f32_e32 v28, s48, v28                                // 0000000086AC: 0A383830
	v_mul_f32_e32 v29, s48, v29                                // 0000000086B0: 0A3A3A30
	v_cvt_pkrtz_f16_f32 v77, v28, v29                          // 0000000086B4: D296004D 00023B1C
	v_accvgpr_read_b32 v28, a220                               // 0000000086BC: D3D8401C 180001DC
	v_accvgpr_read_b32 v29, a221                               // 0000000086C4: D3D8401D 180001DD
	v_mul_f32_e32 v28, s48, v28                                // 0000000086CC: 0A383830
	v_mul_f32_e32 v29, s48, v29                                // 0000000086D0: 0A3A3A30
	v_cvt_pkrtz_f16_f32 v78, v28, v29                          // 0000000086D4: D296004E 00023B1C
	v_accvgpr_read_b32 v28, a222                               // 0000000086DC: D3D8401C 180001DE
	v_accvgpr_read_b32 v29, a223                               // 0000000086E4: D3D8401D 180001DF
	v_mul_f32_e32 v28, s48, v28                                // 0000000086EC: 0A383830
	v_mul_f32_e32 v29, s48, v29                                // 0000000086F0: 0A3A3A30
	v_cvt_pkrtz_f16_f32 v79, v28, v29                          // 0000000086F4: D296004F 00023B1C
	ds_write_b64 v25, v[64:65] offset:16896                    // 0000000086FC: D89A4200 00004019
	ds_write_b64 v25, v[66:67] offset:17424                    // 000000008704: D89A4410 00004219
	ds_write_b64 v25, v[68:69] offset:17952                    // 00000000870C: D89A4620 00004419
	ds_write_b64 v25, v[70:71] offset:18480                    // 000000008714: D89A4830 00004619
	ds_write_b64 v25, v[72:73] offset:19008                    // 00000000871C: D89A4A40 00004819
	ds_write_b64 v25, v[74:75] offset:19536                    // 000000008724: D89A4C50 00004A19
	ds_write_b64 v25, v[76:77] offset:20064                    // 00000000872C: D89A4E60 00004C19
	ds_write_b64 v25, v[78:79] offset:20592                    // 000000008734: D89A5070 00004E19
	s_waitcnt lgkmcnt(0)                                       // 00000000873C: BF8CC07F
	s_barrier                                                  // 000000008740: BF8A0000
	ds_read_b64 v[64:65], v24 offset:16896                     // 000000008744: D8EC4200 40000018
	ds_read_b64 v[66:67], v24 offset:17024                     // 00000000874C: D8EC4280 42000018
	ds_read_b64 v[68:69], v24 offset:16928                     // 000000008754: D8EC4220 44000018
	ds_read_b64 v[70:71], v24 offset:17056                     // 00000000875C: D8EC42A0 46000018
	ds_read_b64 v[72:73], v24 offset:16960                     // 000000008764: D8EC4240 48000018
	ds_read_b64 v[74:75], v24 offset:17088                     // 00000000876C: D8EC42C0 4A000018
	ds_read_b64 v[76:77], v24 offset:16992                     // 000000008774: D8EC4260 4C000018
	ds_read_b64 v[78:79], v24 offset:17120                     // 00000000877C: D8EC42E0 4E000018
	s_waitcnt lgkmcnt(0)                                       // 000000008784: BF8CC07F
	buffer_store_dwordx4 v[64:67], v5, s[36:39], 0 idxen       // 000000008788: E07C2000 80094005
	v_add_u32_e32 v5, s46, v5                                  // 000000008790: 680A0A2E
	buffer_store_dwordx4 v[68:71], v5, s[36:39], 0 idxen       // 000000008794: E07C2000 80094405
	v_add_u32_e32 v5, s46, v5                                  // 00000000879C: 680A0A2E
	buffer_store_dwordx4 v[72:75], v5, s[36:39], 0 idxen       // 0000000087A0: E07C2000 80094805
	v_add_u32_e32 v5, s46, v5                                  // 0000000087A8: 680A0A2E
	buffer_store_dwordx4 v[76:79], v5, s[36:39], 0 idxen       // 0000000087AC: E07C2000 80094C05
	v_add_u32_e32 v5, s46, v5                                  // 0000000087B4: 680A0A2E
	s_mul_i32 s60, 12, s46                                     // 0000000087B8: 923C2E8C
	v_add_u32_e32 v5, s60, v5                                  // 0000000087BC: 680A0A3C
	s_barrier                                                  // 0000000087C0: BF8A0000
	s_cmp_ge_i32 2, s73                                        // 0000000087C4: BF034982
	s_cbranch_scc1 label_1327                                  // 0000000087C8: BF8500B4
	v_accvgpr_read_b32 v28, a224                               // 0000000087CC: D3D8401C 180001E0
	v_accvgpr_read_b32 v29, a225                               // 0000000087D4: D3D8401D 180001E1
	v_mul_f32_e32 v28, s48, v28                                // 0000000087DC: 0A383830
	v_mul_f32_e32 v29, s48, v29                                // 0000000087E0: 0A3A3A30
	v_cvt_pkrtz_f16_f32 v80, v28, v29                          // 0000000087E4: D2960050 00023B1C
	v_accvgpr_read_b32 v28, a226                               // 0000000087EC: D3D8401C 180001E2
	v_accvgpr_read_b32 v29, a227                               // 0000000087F4: D3D8401D 180001E3
	v_mul_f32_e32 v28, s48, v28                                // 0000000087FC: 0A383830
	v_mul_f32_e32 v29, s48, v29                                // 000000008800: 0A3A3A30
	v_cvt_pkrtz_f16_f32 v81, v28, v29                          // 000000008804: D2960051 00023B1C
	v_accvgpr_read_b32 v28, a228                               // 00000000880C: D3D8401C 180001E4
	v_accvgpr_read_b32 v29, a229                               // 000000008814: D3D8401D 180001E5
	v_mul_f32_e32 v28, s48, v28                                // 00000000881C: 0A383830
	v_mul_f32_e32 v29, s48, v29                                // 000000008820: 0A3A3A30
	v_cvt_pkrtz_f16_f32 v82, v28, v29                          // 000000008824: D2960052 00023B1C
	v_accvgpr_read_b32 v28, a230                               // 00000000882C: D3D8401C 180001E6
	v_accvgpr_read_b32 v29, a231                               // 000000008834: D3D8401D 180001E7
	v_mul_f32_e32 v28, s48, v28                                // 00000000883C: 0A383830
	v_mul_f32_e32 v29, s48, v29                                // 000000008840: 0A3A3A30
	v_cvt_pkrtz_f16_f32 v83, v28, v29                          // 000000008844: D2960053 00023B1C
	v_accvgpr_read_b32 v28, a232                               // 00000000884C: D3D8401C 180001E8
	v_accvgpr_read_b32 v29, a233                               // 000000008854: D3D8401D 180001E9
	v_mul_f32_e32 v28, s48, v28                                // 00000000885C: 0A383830
	v_mul_f32_e32 v29, s48, v29                                // 000000008860: 0A3A3A30
	v_cvt_pkrtz_f16_f32 v84, v28, v29                          // 000000008864: D2960054 00023B1C
	v_accvgpr_read_b32 v28, a234                               // 00000000886C: D3D8401C 180001EA
	v_accvgpr_read_b32 v29, a235                               // 000000008874: D3D8401D 180001EB
	v_mul_f32_e32 v28, s48, v28                                // 00000000887C: 0A383830
	v_mul_f32_e32 v29, s48, v29                                // 000000008880: 0A3A3A30
	v_cvt_pkrtz_f16_f32 v85, v28, v29                          // 000000008884: D2960055 00023B1C
	v_accvgpr_read_b32 v28, a236                               // 00000000888C: D3D8401C 180001EC
	v_accvgpr_read_b32 v29, a237                               // 000000008894: D3D8401D 180001ED
	v_mul_f32_e32 v28, s48, v28                                // 00000000889C: 0A383830
	v_mul_f32_e32 v29, s48, v29                                // 0000000088A0: 0A3A3A30
	v_cvt_pkrtz_f16_f32 v86, v28, v29                          // 0000000088A4: D2960056 00023B1C
	v_accvgpr_read_b32 v28, a238                               // 0000000088AC: D3D8401C 180001EE
	v_accvgpr_read_b32 v29, a239                               // 0000000088B4: D3D8401D 180001EF
	v_mul_f32_e32 v28, s48, v28                                // 0000000088BC: 0A383830
	v_mul_f32_e32 v29, s48, v29                                // 0000000088C0: 0A3A3A30
	v_cvt_pkrtz_f16_f32 v87, v28, v29                          // 0000000088C4: D2960057 00023B1C
	v_accvgpr_read_b32 v28, a240                               // 0000000088CC: D3D8401C 180001F0
	v_accvgpr_read_b32 v29, a241                               // 0000000088D4: D3D8401D 180001F1
	v_mul_f32_e32 v28, s48, v28                                // 0000000088DC: 0A383830
	v_mul_f32_e32 v29, s48, v29                                // 0000000088E0: 0A3A3A30
	v_cvt_pkrtz_f16_f32 v88, v28, v29                          // 0000000088E4: D2960058 00023B1C
	v_accvgpr_read_b32 v28, a242                               // 0000000088EC: D3D8401C 180001F2
	v_accvgpr_read_b32 v29, a243                               // 0000000088F4: D3D8401D 180001F3
	v_mul_f32_e32 v28, s48, v28                                // 0000000088FC: 0A383830
	v_mul_f32_e32 v29, s48, v29                                // 000000008900: 0A3A3A30
	v_cvt_pkrtz_f16_f32 v89, v28, v29                          // 000000008904: D2960059 00023B1C
	v_accvgpr_read_b32 v28, a244                               // 00000000890C: D3D8401C 180001F4
	v_accvgpr_read_b32 v29, a245                               // 000000008914: D3D8401D 180001F5
	v_mul_f32_e32 v28, s48, v28                                // 00000000891C: 0A383830
	v_mul_f32_e32 v29, s48, v29                                // 000000008920: 0A3A3A30
	v_cvt_pkrtz_f16_f32 v90, v28, v29                          // 000000008924: D296005A 00023B1C
	v_accvgpr_read_b32 v28, a246                               // 00000000892C: D3D8401C 180001F6
	v_accvgpr_read_b32 v29, a247                               // 000000008934: D3D8401D 180001F7
	v_mul_f32_e32 v28, s48, v28                                // 00000000893C: 0A383830
	v_mul_f32_e32 v29, s48, v29                                // 000000008940: 0A3A3A30
	v_cvt_pkrtz_f16_f32 v91, v28, v29                          // 000000008944: D296005B 00023B1C
	v_accvgpr_read_b32 v28, a248                               // 00000000894C: D3D8401C 180001F8
	v_accvgpr_read_b32 v29, a249                               // 000000008954: D3D8401D 180001F9
	v_mul_f32_e32 v28, s48, v28                                // 00000000895C: 0A383830
	v_mul_f32_e32 v29, s48, v29                                // 000000008960: 0A3A3A30
	v_cvt_pkrtz_f16_f32 v92, v28, v29                          // 000000008964: D296005C 00023B1C
	v_accvgpr_read_b32 v28, a250                               // 00000000896C: D3D8401C 180001FA
	v_accvgpr_read_b32 v29, a251                               // 000000008974: D3D8401D 180001FB
	v_mul_f32_e32 v28, s48, v28                                // 00000000897C: 0A383830
	v_mul_f32_e32 v29, s48, v29                                // 000000008980: 0A3A3A30
	v_cvt_pkrtz_f16_f32 v93, v28, v29                          // 000000008984: D296005D 00023B1C
	v_accvgpr_read_b32 v28, a252                               // 00000000898C: D3D8401C 180001FC
	v_accvgpr_read_b32 v29, a253                               // 000000008994: D3D8401D 180001FD
	v_mul_f32_e32 v28, s48, v28                                // 00000000899C: 0A383830
	v_mul_f32_e32 v29, s48, v29                                // 0000000089A0: 0A3A3A30
	v_cvt_pkrtz_f16_f32 v94, v28, v29                          // 0000000089A4: D296005E 00023B1C
	v_accvgpr_read_b32 v28, a254                               // 0000000089AC: D3D8401C 180001FE
	v_accvgpr_read_b32 v29, a255                               // 0000000089B4: D3D8401D 180001FF
	v_mul_f32_e32 v28, s48, v28                                // 0000000089BC: 0A383830
	v_mul_f32_e32 v29, s48, v29                                // 0000000089C0: 0A3A3A30
	v_cvt_pkrtz_f16_f32 v95, v28, v29                          // 0000000089C4: D296005F 00023B1C
	ds_write_b64 v25, v[80:81] offset:33792                    // 0000000089CC: D89A8400 00005019
	ds_write_b64 v25, v[82:83] offset:34320                    // 0000000089D4: D89A8610 00005219
	ds_write_b64 v25, v[84:85] offset:34848                    // 0000000089DC: D89A8820 00005419
	ds_write_b64 v25, v[86:87] offset:35376                    // 0000000089E4: D89A8A30 00005619
	ds_write_b64 v25, v[88:89] offset:35904                    // 0000000089EC: D89A8C40 00005819
	ds_write_b64 v25, v[90:91] offset:36432                    // 0000000089F4: D89A8E50 00005A19
	ds_write_b64 v25, v[92:93] offset:36960                    // 0000000089FC: D89A9060 00005C19
	ds_write_b64 v25, v[94:95] offset:37488                    // 000000008A04: D89A9270 00005E19
	s_waitcnt lgkmcnt(0)                                       // 000000008A0C: BF8CC07F
	s_barrier                                                  // 000000008A10: BF8A0000
	ds_read_b64 v[80:81], v24 offset:33792                     // 000000008A14: D8EC8400 50000018
	ds_read_b64 v[82:83], v24 offset:33920                     // 000000008A1C: D8EC8480 52000018
	ds_read_b64 v[84:85], v24 offset:33824                     // 000000008A24: D8EC8420 54000018
	ds_read_b64 v[86:87], v24 offset:33952                     // 000000008A2C: D8EC84A0 56000018
	ds_read_b64 v[88:89], v24 offset:33856                     // 000000008A34: D8EC8440 58000018
	ds_read_b64 v[90:91], v24 offset:33984                     // 000000008A3C: D8EC84C0 5A000018
	ds_read_b64 v[92:93], v24 offset:33888                     // 000000008A44: D8EC8460 5C000018
	ds_read_b64 v[94:95], v24 offset:34016                     // 000000008A4C: D8EC84E0 5E000018
	s_waitcnt lgkmcnt(0)                                       // 000000008A54: BF8CC07F
	buffer_store_dwordx4 v[80:83], v5, s[36:39], 0 idxen       // 000000008A58: E07C2000 80095005
	v_add_u32_e32 v5, s46, v5                                  // 000000008A60: 680A0A2E
	buffer_store_dwordx4 v[84:87], v5, s[36:39], 0 idxen       // 000000008A64: E07C2000 80095405
	v_add_u32_e32 v5, s46, v5                                  // 000000008A6C: 680A0A2E
	buffer_store_dwordx4 v[88:91], v5, s[36:39], 0 idxen       // 000000008A70: E07C2000 80095805
	v_add_u32_e32 v5, s46, v5                                  // 000000008A78: 680A0A2E
	buffer_store_dwordx4 v[92:95], v5, s[36:39], 0 idxen       // 000000008A7C: E07C2000 80095C05
	v_add_u32_e32 v5, s46, v5                                  // 000000008A84: 680A0A2E
	s_mul_i32 s60, 12, s46                                     // 000000008A88: 923C2E8C
	v_add_u32_e32 v5, s60, v5                                  // 000000008A8C: 680A0A3C
	s_barrier                                                  // 000000008A90: BF8A0000
	s_cmp_ge_i32 3, s73                                        // 000000008A94: BF034983
	s_cbranch_scc1 label_1327                                  // 000000008A98: BF850000

0000000000008a9c <label_1327>:
	v_mov_b32_e32 v28, v152                                    // 000000008A9C: 7E380398
	v_mov_b32_e32 v29, v153                                    // 000000008AA0: 7E3A0399
	v_cvt_pkrtz_f16_f32 v152, v28, v29                         // 000000008AA4: D2960098 00023B1C
	v_mov_b32_e32 v28, v154                                    // 000000008AAC: 7E38039A
	v_mov_b32_e32 v29, v155                                    // 000000008AB0: 7E3A039B
	v_cvt_pkrtz_f16_f32 v153, v28, v29                         // 000000008AB4: D2960099 00023B1C
	v_mov_b32_e32 v28, v156                                    // 000000008ABC: 7E38039C
	v_mov_b32_e32 v29, v157                                    // 000000008AC0: 7E3A039D
	v_cvt_pkrtz_f16_f32 v154, v28, v29                         // 000000008AC4: D296009A 00023B1C
	v_mov_b32_e32 v28, v158                                    // 000000008ACC: 7E38039E
	v_mov_b32_e32 v29, v159                                    // 000000008AD0: 7E3A039F
	v_cvt_pkrtz_f16_f32 v155, v28, v29                         // 000000008AD4: D296009B 00023B1C
	v_mov_b32_e32 v28, v160                                    // 000000008ADC: 7E3803A0
	v_mov_b32_e32 v29, v161                                    // 000000008AE0: 7E3A03A1
	v_cvt_pkrtz_f16_f32 v156, v28, v29                         // 000000008AE4: D296009C 00023B1C
	v_mov_b32_e32 v28, v162                                    // 000000008AEC: 7E3803A2
	v_mov_b32_e32 v29, v163                                    // 000000008AF0: 7E3A03A3
	v_cvt_pkrtz_f16_f32 v157, v28, v29                         // 000000008AF4: D296009D 00023B1C
	v_mov_b32_e32 v28, v164                                    // 000000008AFC: 7E3803A4
	v_mov_b32_e32 v29, v165                                    // 000000008B00: 7E3A03A5
	v_cvt_pkrtz_f16_f32 v158, v28, v29                         // 000000008B04: D296009E 00023B1C
	v_mov_b32_e32 v28, v166                                    // 000000008B0C: 7E3803A6
	v_mov_b32_e32 v29, v167                                    // 000000008B10: 7E3A03A7
	v_cvt_pkrtz_f16_f32 v159, v28, v29                         // 000000008B14: D296009F 00023B1C
	v_mov_b32_e32 v28, v168                                    // 000000008B1C: 7E3803A8
	v_mov_b32_e32 v29, v169                                    // 000000008B20: 7E3A03A9
	v_cvt_pkrtz_f16_f32 v160, v28, v29                         // 000000008B24: D29600A0 00023B1C
	v_mov_b32_e32 v28, v170                                    // 000000008B2C: 7E3803AA
	v_mov_b32_e32 v29, v171                                    // 000000008B30: 7E3A03AB
	v_cvt_pkrtz_f16_f32 v161, v28, v29                         // 000000008B34: D29600A1 00023B1C
	v_mov_b32_e32 v28, v172                                    // 000000008B3C: 7E3803AC
	v_mov_b32_e32 v29, v173                                    // 000000008B40: 7E3A03AD
	v_cvt_pkrtz_f16_f32 v162, v28, v29                         // 000000008B44: D29600A2 00023B1C
	v_mov_b32_e32 v28, v174                                    // 000000008B4C: 7E3803AE
	v_mov_b32_e32 v29, v175                                    // 000000008B50: 7E3A03AF
	v_cvt_pkrtz_f16_f32 v163, v28, v29                         // 000000008B54: D29600A3 00023B1C
	v_mov_b32_e32 v28, v176                                    // 000000008B5C: 7E3803B0
	v_mov_b32_e32 v29, v177                                    // 000000008B60: 7E3A03B1
	v_cvt_pkrtz_f16_f32 v164, v28, v29                         // 000000008B64: D29600A4 00023B1C
	v_mov_b32_e32 v28, v178                                    // 000000008B6C: 7E3803B2
	v_mov_b32_e32 v29, v179                                    // 000000008B70: 7E3A03B3
	v_cvt_pkrtz_f16_f32 v165, v28, v29                         // 000000008B74: D29600A5 00023B1C
	v_mov_b32_e32 v28, v180                                    // 000000008B7C: 7E3803B4
	v_mov_b32_e32 v29, v181                                    // 000000008B80: 7E3A03B5
	v_cvt_pkrtz_f16_f32 v166, v28, v29                         // 000000008B84: D29600A6 00023B1C
	v_mov_b32_e32 v28, v182                                    // 000000008B8C: 7E3803B6
	v_mov_b32_e32 v29, v183                                    // 000000008B90: 7E3A03B7
	v_cvt_pkrtz_f16_f32 v167, v28, v29                         // 000000008B94: D29600A7 00023B1C
	ds_write_b64 v25, v[152:153]                               // 000000008B9C: D89A0000 00009819
	ds_write_b64 v25, v[154:155] offset:528                    // 000000008BA4: D89A0210 00009A19
	ds_write_b64 v25, v[156:157] offset:1056                   // 000000008BAC: D89A0420 00009C19
	ds_write_b64 v25, v[158:159] offset:1584                   // 000000008BB4: D89A0630 00009E19
	ds_write_b64 v25, v[160:161] offset:2112                   // 000000008BBC: D89A0840 0000A019
	ds_write_b64 v25, v[162:163] offset:2640                   // 000000008BC4: D89A0A50 0000A219
	ds_write_b64 v25, v[164:165] offset:3168                   // 000000008BCC: D89A0C60 0000A419
	ds_write_b64 v25, v[166:167] offset:3696                   // 000000008BD4: D89A0E70 0000A619
	s_waitcnt lgkmcnt(0)                                       // 000000008BDC: BF8CC07F
	s_barrier                                                  // 000000008BE0: BF8A0000
	ds_read_b64 v[152:153], v24                                // 000000008BE4: D8EC0000 98000018
	ds_read_b64 v[154:155], v24 offset:128                     // 000000008BEC: D8EC0080 9A000018
	ds_read_b64 v[156:157], v24 offset:32                      // 000000008BF4: D8EC0020 9C000018
	ds_read_b64 v[158:159], v24 offset:160                     // 000000008BFC: D8EC00A0 9E000018
	ds_read_b64 v[160:161], v24 offset:64                      // 000000008C04: D8EC0040 A0000018
	ds_read_b64 v[162:163], v24 offset:192                     // 000000008C0C: D8EC00C0 A2000018
	ds_read_b64 v[164:165], v24 offset:96                      // 000000008C14: D8EC0060 A4000018
	ds_read_b64 v[166:167], v24 offset:224                     // 000000008C1C: D8EC00E0 A6000018
	s_waitcnt lgkmcnt(0)                                       // 000000008C24: BF8CC07F
	buffer_store_dwordx4 v[152:155], v6, s[40:43], 0 idxen     // 000000008C28: E07C2000 800A9806
	v_add_u32_e32 v6, s46, v6                                  // 000000008C30: 680C0C2E
	buffer_store_dwordx4 v[156:159], v6, s[40:43], 0 idxen     // 000000008C34: E07C2000 800A9C06
	v_add_u32_e32 v6, s46, v6                                  // 000000008C3C: 680C0C2E
	buffer_store_dwordx4 v[160:163], v6, s[40:43], 0 idxen     // 000000008C40: E07C2000 800AA006
	v_add_u32_e32 v6, s46, v6                                  // 000000008C48: 680C0C2E
	buffer_store_dwordx4 v[164:167], v6, s[40:43], 0 idxen     // 000000008C4C: E07C2000 800AA406
	v_add_u32_e32 v6, s46, v6                                  // 000000008C54: 680C0C2E
	s_mul_i32 s60, 12, s46                                     // 000000008C58: 923C2E8C
	v_add_u32_e32 v6, s60, v6                                  // 000000008C5C: 680C0C3C
	s_cmp_ge_i32 1, s73                                        // 000000008C60: BF034981
	s_cbranch_scc1 label_1480                                  // 000000008C64: BF8500E6
	v_mov_b32_e32 v28, v184                                    // 000000008C68: 7E3803B8
	v_mov_b32_e32 v29, v185                                    // 000000008C6C: 7E3A03B9
	v_cvt_pkrtz_f16_f32 v168, v28, v29                         // 000000008C70: D29600A8 00023B1C
	v_mov_b32_e32 v28, v186                                    // 000000008C78: 7E3803BA
	v_mov_b32_e32 v29, v187                                    // 000000008C7C: 7E3A03BB
	v_cvt_pkrtz_f16_f32 v169, v28, v29                         // 000000008C80: D29600A9 00023B1C
	v_mov_b32_e32 v28, v188                                    // 000000008C88: 7E3803BC
	v_mov_b32_e32 v29, v189                                    // 000000008C8C: 7E3A03BD
	v_cvt_pkrtz_f16_f32 v170, v28, v29                         // 000000008C90: D29600AA 00023B1C
	v_mov_b32_e32 v28, v190                                    // 000000008C98: 7E3803BE
	v_mov_b32_e32 v29, v191                                    // 000000008C9C: 7E3A03BF
	v_cvt_pkrtz_f16_f32 v171, v28, v29                         // 000000008CA0: D29600AB 00023B1C
	v_mov_b32_e32 v28, v192                                    // 000000008CA8: 7E3803C0
	v_mov_b32_e32 v29, v193                                    // 000000008CAC: 7E3A03C1
	v_cvt_pkrtz_f16_f32 v172, v28, v29                         // 000000008CB0: D29600AC 00023B1C
	v_mov_b32_e32 v28, v194                                    // 000000008CB8: 7E3803C2
	v_mov_b32_e32 v29, v195                                    // 000000008CBC: 7E3A03C3
	v_cvt_pkrtz_f16_f32 v173, v28, v29                         // 000000008CC0: D29600AD 00023B1C
	v_mov_b32_e32 v28, v196                                    // 000000008CC8: 7E3803C4
	v_mov_b32_e32 v29, v197                                    // 000000008CCC: 7E3A03C5
	v_cvt_pkrtz_f16_f32 v174, v28, v29                         // 000000008CD0: D29600AE 00023B1C
	v_mov_b32_e32 v28, v198                                    // 000000008CD8: 7E3803C6
	v_mov_b32_e32 v29, v199                                    // 000000008CDC: 7E3A03C7
	v_cvt_pkrtz_f16_f32 v175, v28, v29                         // 000000008CE0: D29600AF 00023B1C
	v_mov_b32_e32 v28, v200                                    // 000000008CE8: 7E3803C8
	v_mov_b32_e32 v29, v201                                    // 000000008CEC: 7E3A03C9
	v_cvt_pkrtz_f16_f32 v176, v28, v29                         // 000000008CF0: D29600B0 00023B1C
	v_mov_b32_e32 v28, v202                                    // 000000008CF8: 7E3803CA
	v_mov_b32_e32 v29, v203                                    // 000000008CFC: 7E3A03CB
	v_cvt_pkrtz_f16_f32 v177, v28, v29                         // 000000008D00: D29600B1 00023B1C
	v_mov_b32_e32 v28, v204                                    // 000000008D08: 7E3803CC
	v_mov_b32_e32 v29, v205                                    // 000000008D0C: 7E3A03CD
	v_cvt_pkrtz_f16_f32 v178, v28, v29                         // 000000008D10: D29600B2 00023B1C
	v_mov_b32_e32 v28, v206                                    // 000000008D18: 7E3803CE
	v_mov_b32_e32 v29, v207                                    // 000000008D1C: 7E3A03CF
	v_cvt_pkrtz_f16_f32 v179, v28, v29                         // 000000008D20: D29600B3 00023B1C
	v_mov_b32_e32 v28, v208                                    // 000000008D28: 7E3803D0
	v_mov_b32_e32 v29, v209                                    // 000000008D2C: 7E3A03D1
	v_cvt_pkrtz_f16_f32 v180, v28, v29                         // 000000008D30: D29600B4 00023B1C
	v_mov_b32_e32 v28, v210                                    // 000000008D38: 7E3803D2
	v_mov_b32_e32 v29, v211                                    // 000000008D3C: 7E3A03D3
	v_cvt_pkrtz_f16_f32 v181, v28, v29                         // 000000008D40: D29600B5 00023B1C
	v_mov_b32_e32 v28, v212                                    // 000000008D48: 7E3803D4
	v_mov_b32_e32 v29, v213                                    // 000000008D4C: 7E3A03D5
	v_cvt_pkrtz_f16_f32 v182, v28, v29                         // 000000008D50: D29600B6 00023B1C
	v_mov_b32_e32 v28, v214                                    // 000000008D58: 7E3803D6
	v_mov_b32_e32 v29, v215                                    // 000000008D5C: 7E3A03D7
	v_cvt_pkrtz_f16_f32 v183, v28, v29                         // 000000008D60: D29600B7 00023B1C
	ds_write_b64 v25, v[168:169] offset:16896                  // 000000008D68: D89A4200 0000A819
	ds_write_b64 v25, v[170:171] offset:17424                  // 000000008D70: D89A4410 0000AA19
	ds_write_b64 v25, v[172:173] offset:17952                  // 000000008D78: D89A4620 0000AC19
	ds_write_b64 v25, v[174:175] offset:18480                  // 000000008D80: D89A4830 0000AE19
	ds_write_b64 v25, v[176:177] offset:19008                  // 000000008D88: D89A4A40 0000B019
	ds_write_b64 v25, v[178:179] offset:19536                  // 000000008D90: D89A4C50 0000B219
	ds_write_b64 v25, v[180:181] offset:20064                  // 000000008D98: D89A4E60 0000B419
	ds_write_b64 v25, v[182:183] offset:20592                  // 000000008DA0: D89A5070 0000B619
	s_waitcnt lgkmcnt(0)                                       // 000000008DA8: BF8CC07F
	s_barrier                                                  // 000000008DAC: BF8A0000
	ds_read_b64 v[168:169], v24 offset:16896                   // 000000008DB0: D8EC4200 A8000018
	ds_read_b64 v[170:171], v24 offset:17024                   // 000000008DB8: D8EC4280 AA000018
	ds_read_b64 v[172:173], v24 offset:16928                   // 000000008DC0: D8EC4220 AC000018
	ds_read_b64 v[174:175], v24 offset:17056                   // 000000008DC8: D8EC42A0 AE000018
	ds_read_b64 v[176:177], v24 offset:16960                   // 000000008DD0: D8EC4240 B0000018
	ds_read_b64 v[178:179], v24 offset:17088                   // 000000008DD8: D8EC42C0 B2000018
	ds_read_b64 v[180:181], v24 offset:16992                   // 000000008DE0: D8EC4260 B4000018
	ds_read_b64 v[182:183], v24 offset:17120                   // 000000008DE8: D8EC42E0 B6000018
	s_waitcnt lgkmcnt(0)                                       // 000000008DF0: BF8CC07F
	buffer_store_dwordx4 v[168:171], v6, s[40:43], 0 idxen     // 000000008DF4: E07C2000 800AA806
	v_add_u32_e32 v6, s46, v6                                  // 000000008DFC: 680C0C2E
	buffer_store_dwordx4 v[172:175], v6, s[40:43], 0 idxen     // 000000008E00: E07C2000 800AAC06
	v_add_u32_e32 v6, s46, v6                                  // 000000008E08: 680C0C2E
	buffer_store_dwordx4 v[176:179], v6, s[40:43], 0 idxen     // 000000008E0C: E07C2000 800AB006
	v_add_u32_e32 v6, s46, v6                                  // 000000008E14: 680C0C2E
	buffer_store_dwordx4 v[180:183], v6, s[40:43], 0 idxen     // 000000008E18: E07C2000 800AB406
	v_add_u32_e32 v6, s46, v6                                  // 000000008E20: 680C0C2E
	s_mul_i32 s60, 12, s46                                     // 000000008E24: 923C2E8C
	v_add_u32_e32 v6, s60, v6                                  // 000000008E28: 680C0C3C
	s_cmp_ge_i32 2, s73                                        // 000000008E2C: BF034982
	s_cbranch_scc1 label_1480                                  // 000000008E30: BF850073
	v_mov_b32_e32 v28, v216                                    // 000000008E34: 7E3803D8
	v_mov_b32_e32 v29, v217                                    // 000000008E38: 7E3A03D9
	v_cvt_pkrtz_f16_f32 v184, v28, v29                         // 000000008E3C: D29600B8 00023B1C
	v_mov_b32_e32 v28, v218                                    // 000000008E44: 7E3803DA
	v_mov_b32_e32 v29, v219                                    // 000000008E48: 7E3A03DB
	v_cvt_pkrtz_f16_f32 v185, v28, v29                         // 000000008E4C: D29600B9 00023B1C
	v_mov_b32_e32 v28, v220                                    // 000000008E54: 7E3803DC
	v_mov_b32_e32 v29, v221                                    // 000000008E58: 7E3A03DD
	v_cvt_pkrtz_f16_f32 v186, v28, v29                         // 000000008E5C: D29600BA 00023B1C
	v_mov_b32_e32 v28, v222                                    // 000000008E64: 7E3803DE
	v_mov_b32_e32 v29, v223                                    // 000000008E68: 7E3A03DF
	v_cvt_pkrtz_f16_f32 v187, v28, v29                         // 000000008E6C: D29600BB 00023B1C
	v_mov_b32_e32 v28, v224                                    // 000000008E74: 7E3803E0
	v_mov_b32_e32 v29, v225                                    // 000000008E78: 7E3A03E1
	v_cvt_pkrtz_f16_f32 v188, v28, v29                         // 000000008E7C: D29600BC 00023B1C
	v_mov_b32_e32 v28, v226                                    // 000000008E84: 7E3803E2
	v_mov_b32_e32 v29, v227                                    // 000000008E88: 7E3A03E3
	v_cvt_pkrtz_f16_f32 v189, v28, v29                         // 000000008E8C: D29600BD 00023B1C
	v_mov_b32_e32 v28, v228                                    // 000000008E94: 7E3803E4
	v_mov_b32_e32 v29, v229                                    // 000000008E98: 7E3A03E5
	v_cvt_pkrtz_f16_f32 v190, v28, v29                         // 000000008E9C: D29600BE 00023B1C
	v_mov_b32_e32 v28, v230                                    // 000000008EA4: 7E3803E6
	v_mov_b32_e32 v29, v231                                    // 000000008EA8: 7E3A03E7
	v_cvt_pkrtz_f16_f32 v191, v28, v29                         // 000000008EAC: D29600BF 00023B1C
	v_mov_b32_e32 v28, v232                                    // 000000008EB4: 7E3803E8
	v_mov_b32_e32 v29, v233                                    // 000000008EB8: 7E3A03E9
	v_cvt_pkrtz_f16_f32 v192, v28, v29                         // 000000008EBC: D29600C0 00023B1C
	v_mov_b32_e32 v28, v234                                    // 000000008EC4: 7E3803EA
	v_mov_b32_e32 v29, v235                                    // 000000008EC8: 7E3A03EB
	v_cvt_pkrtz_f16_f32 v193, v28, v29                         // 000000008ECC: D29600C1 00023B1C
	v_mov_b32_e32 v28, v236                                    // 000000008ED4: 7E3803EC
	v_mov_b32_e32 v29, v237                                    // 000000008ED8: 7E3A03ED
	v_cvt_pkrtz_f16_f32 v194, v28, v29                         // 000000008EDC: D29600C2 00023B1C
	v_mov_b32_e32 v28, v238                                    // 000000008EE4: 7E3803EE
	v_mov_b32_e32 v29, v239                                    // 000000008EE8: 7E3A03EF
	v_cvt_pkrtz_f16_f32 v195, v28, v29                         // 000000008EEC: D29600C3 00023B1C
	v_mov_b32_e32 v28, v240                                    // 000000008EF4: 7E3803F0
	v_mov_b32_e32 v29, v241                                    // 000000008EF8: 7E3A03F1
	v_cvt_pkrtz_f16_f32 v196, v28, v29                         // 000000008EFC: D29600C4 00023B1C
	v_mov_b32_e32 v28, v242                                    // 000000008F04: 7E3803F2
	v_mov_b32_e32 v29, v243                                    // 000000008F08: 7E3A03F3
	v_cvt_pkrtz_f16_f32 v197, v28, v29                         // 000000008F0C: D29600C5 00023B1C
	v_mov_b32_e32 v28, v244                                    // 000000008F14: 7E3803F4
	v_mov_b32_e32 v29, v245                                    // 000000008F18: 7E3A03F5
	v_cvt_pkrtz_f16_f32 v198, v28, v29                         // 000000008F1C: D29600C6 00023B1C
	v_mov_b32_e32 v28, v246                                    // 000000008F24: 7E3803F6
	v_mov_b32_e32 v29, v247                                    // 000000008F28: 7E3A03F7
	v_cvt_pkrtz_f16_f32 v199, v28, v29                         // 000000008F2C: D29600C7 00023B1C
	ds_write_b64 v25, v[184:185] offset:33792                  // 000000008F34: D89A8400 0000B819
	ds_write_b64 v25, v[186:187] offset:34320                  // 000000008F3C: D89A8610 0000BA19
	ds_write_b64 v25, v[188:189] offset:34848                  // 000000008F44: D89A8820 0000BC19
	ds_write_b64 v25, v[190:191] offset:35376                  // 000000008F4C: D89A8A30 0000BE19
	ds_write_b64 v25, v[192:193] offset:35904                  // 000000008F54: D89A8C40 0000C019
	ds_write_b64 v25, v[194:195] offset:36432                  // 000000008F5C: D89A8E50 0000C219
	ds_write_b64 v25, v[196:197] offset:36960                  // 000000008F64: D89A9060 0000C419
	ds_write_b64 v25, v[198:199] offset:37488                  // 000000008F6C: D89A9270 0000C619
	s_waitcnt lgkmcnt(0)                                       // 000000008F74: BF8CC07F
	s_barrier                                                  // 000000008F78: BF8A0000
	ds_read_b64 v[184:185], v24 offset:33792                   // 000000008F7C: D8EC8400 B8000018
	ds_read_b64 v[186:187], v24 offset:33920                   // 000000008F84: D8EC8480 BA000018
	ds_read_b64 v[188:189], v24 offset:33824                   // 000000008F8C: D8EC8420 BC000018
	ds_read_b64 v[190:191], v24 offset:33952                   // 000000008F94: D8EC84A0 BE000018
	ds_read_b64 v[192:193], v24 offset:33856                   // 000000008F9C: D8EC8440 C0000018
	ds_read_b64 v[194:195], v24 offset:33984                   // 000000008FA4: D8EC84C0 C2000018
	ds_read_b64 v[196:197], v24 offset:33888                   // 000000008FAC: D8EC8460 C4000018
	ds_read_b64 v[198:199], v24 offset:34016                   // 000000008FB4: D8EC84E0 C6000018
	s_waitcnt lgkmcnt(0)                                       // 000000008FBC: BF8CC07F
	buffer_store_dwordx4 v[184:187], v6, s[40:43], 0 idxen     // 000000008FC0: E07C2000 800AB806
	v_add_u32_e32 v6, s46, v6                                  // 000000008FC8: 680C0C2E
	buffer_store_dwordx4 v[188:191], v6, s[40:43], 0 idxen     // 000000008FCC: E07C2000 800ABC06
	v_add_u32_e32 v6, s46, v6                                  // 000000008FD4: 680C0C2E
	buffer_store_dwordx4 v[192:195], v6, s[40:43], 0 idxen     // 000000008FD8: E07C2000 800AC006
	v_add_u32_e32 v6, s46, v6                                  // 000000008FE0: 680C0C2E
	buffer_store_dwordx4 v[196:199], v6, s[40:43], 0 idxen     // 000000008FE4: E07C2000 800AC406
	v_add_u32_e32 v6, s46, v6                                  // 000000008FEC: 680C0C2E
	s_mul_i32 s60, 12, s46                                     // 000000008FF0: 923C2E8C
	v_add_u32_e32 v6, s60, v6                                  // 000000008FF4: 680C0C3C
	s_cmp_ge_i32 3, s73                                        // 000000008FF8: BF034983
	s_cbranch_scc1 label_1480                                  // 000000008FFC: BF850000

0000000000009000 <label_1480>:
	s_waitcnt vmcnt(0) expcnt(0) lgkmcnt(0)                    // 000000009000: BF8C0000
	s_endpgm                                                   // 000000009004: BF810000
